;; amdgpu-corpus repo=ROCm/rocFFT kind=compiled arch=gfx1201 opt=O3
	.text
	.amdgcn_target "amdgcn-amd-amdhsa--gfx1201"
	.amdhsa_code_object_version 6
	.protected	fft_rtc_back_len1352_factors_2_13_13_4_wgs_52_tpt_52_halfLds_dp_op_CI_CI_sbrr_dirReg ; -- Begin function fft_rtc_back_len1352_factors_2_13_13_4_wgs_52_tpt_52_halfLds_dp_op_CI_CI_sbrr_dirReg
	.globl	fft_rtc_back_len1352_factors_2_13_13_4_wgs_52_tpt_52_halfLds_dp_op_CI_CI_sbrr_dirReg
	.p2align	8
	.type	fft_rtc_back_len1352_factors_2_13_13_4_wgs_52_tpt_52_halfLds_dp_op_CI_CI_sbrr_dirReg,@function
fft_rtc_back_len1352_factors_2_13_13_4_wgs_52_tpt_52_halfLds_dp_op_CI_CI_sbrr_dirReg: ; @fft_rtc_back_len1352_factors_2_13_13_4_wgs_52_tpt_52_halfLds_dp_op_CI_CI_sbrr_dirReg
; %bb.0:
	s_clause 0x2
	s_load_b128 s[12:15], s[0:1], 0x18
	s_load_b128 s[4:7], s[0:1], 0x0
	;; [unrolled: 1-line block ×3, first 2 shown]
	v_mul_u32_u24_e32 v1, 0x4ed, v0
	v_mov_b32_e32 v4, 0
	v_mov_b32_e32 v5, 0
	s_wait_kmcnt 0x0
	s_load_b64 s[18:19], s[12:13], 0x0
	s_load_b64 s[16:17], s[14:15], 0x0
	v_lshrrev_b32_e32 v2, 16, v1
	v_mov_b32_e32 v1, 0
	v_cmp_lt_u64_e64 s2, s[6:7], 2
	s_delay_alu instid0(VALU_DEP_2) | instskip(NEXT) | instid1(VALU_DEP_2)
	v_dual_mov_b32 v7, v1 :: v_dual_add_nc_u32 v6, ttmp9, v2
	s_and_b32 vcc_lo, exec_lo, s2
	s_cbranch_vccnz .LBB0_8
; %bb.1:
	s_load_b64 s[2:3], s[0:1], 0x10
	v_mov_b32_e32 v4, 0
	v_mov_b32_e32 v5, 0
	s_add_nc_u64 s[20:21], s[14:15], 8
	s_add_nc_u64 s[22:23], s[12:13], 8
	s_mov_b64 s[24:25], 1
	s_delay_alu instid0(VALU_DEP_1)
	v_dual_mov_b32 v137, v5 :: v_dual_mov_b32 v136, v4
	s_wait_kmcnt 0x0
	s_add_nc_u64 s[26:27], s[2:3], 8
	s_mov_b32 s3, 0
.LBB0_2:                                ; =>This Inner Loop Header: Depth=1
	s_load_b64 s[28:29], s[26:27], 0x0
                                        ; implicit-def: $vgpr106_vgpr107
	s_mov_b32 s2, exec_lo
	s_wait_kmcnt 0x0
	v_or_b32_e32 v2, s29, v7
	s_delay_alu instid0(VALU_DEP_1)
	v_cmpx_ne_u64_e32 0, v[1:2]
	s_wait_alu 0xfffe
	s_xor_b32 s30, exec_lo, s2
	s_cbranch_execz .LBB0_4
; %bb.3:                                ;   in Loop: Header=BB0_2 Depth=1
	s_cvt_f32_u32 s2, s28
	s_cvt_f32_u32 s31, s29
	s_sub_nc_u64 s[36:37], 0, s[28:29]
	s_wait_alu 0xfffe
	s_delay_alu instid0(SALU_CYCLE_1) | instskip(SKIP_1) | instid1(SALU_CYCLE_2)
	s_fmamk_f32 s2, s31, 0x4f800000, s2
	s_wait_alu 0xfffe
	v_s_rcp_f32 s2, s2
	s_delay_alu instid0(TRANS32_DEP_1) | instskip(SKIP_1) | instid1(SALU_CYCLE_2)
	s_mul_f32 s2, s2, 0x5f7ffffc
	s_wait_alu 0xfffe
	s_mul_f32 s31, s2, 0x2f800000
	s_wait_alu 0xfffe
	s_delay_alu instid0(SALU_CYCLE_2) | instskip(SKIP_1) | instid1(SALU_CYCLE_2)
	s_trunc_f32 s31, s31
	s_wait_alu 0xfffe
	s_fmamk_f32 s2, s31, 0xcf800000, s2
	s_cvt_u32_f32 s35, s31
	s_wait_alu 0xfffe
	s_delay_alu instid0(SALU_CYCLE_1) | instskip(SKIP_1) | instid1(SALU_CYCLE_2)
	s_cvt_u32_f32 s34, s2
	s_wait_alu 0xfffe
	s_mul_u64 s[38:39], s[36:37], s[34:35]
	s_wait_alu 0xfffe
	s_mul_hi_u32 s41, s34, s39
	s_mul_i32 s40, s34, s39
	s_mul_hi_u32 s2, s34, s38
	s_mul_i32 s33, s35, s38
	s_wait_alu 0xfffe
	s_add_nc_u64 s[40:41], s[2:3], s[40:41]
	s_mul_hi_u32 s31, s35, s38
	s_mul_hi_u32 s42, s35, s39
	s_add_co_u32 s2, s40, s33
	s_wait_alu 0xfffe
	s_add_co_ci_u32 s2, s41, s31
	s_mul_i32 s38, s35, s39
	s_add_co_ci_u32 s39, s42, 0
	s_wait_alu 0xfffe
	s_add_nc_u64 s[38:39], s[2:3], s[38:39]
	s_wait_alu 0xfffe
	v_add_co_u32 v2, s2, s34, s38
	s_delay_alu instid0(VALU_DEP_1) | instskip(SKIP_1) | instid1(VALU_DEP_1)
	s_cmp_lg_u32 s2, 0
	s_add_co_ci_u32 s35, s35, s39
	v_readfirstlane_b32 s34, v2
	s_wait_alu 0xfffe
	s_delay_alu instid0(VALU_DEP_1)
	s_mul_u64 s[36:37], s[36:37], s[34:35]
	s_wait_alu 0xfffe
	s_mul_hi_u32 s39, s34, s37
	s_mul_i32 s38, s34, s37
	s_mul_hi_u32 s2, s34, s36
	s_mul_i32 s33, s35, s36
	s_wait_alu 0xfffe
	s_add_nc_u64 s[38:39], s[2:3], s[38:39]
	s_mul_hi_u32 s31, s35, s36
	s_mul_hi_u32 s34, s35, s37
	s_wait_alu 0xfffe
	s_add_co_u32 s2, s38, s33
	s_add_co_ci_u32 s2, s39, s31
	s_mul_i32 s36, s35, s37
	s_add_co_ci_u32 s37, s34, 0
	s_wait_alu 0xfffe
	s_add_nc_u64 s[36:37], s[2:3], s[36:37]
	s_wait_alu 0xfffe
	v_add_co_u32 v8, s2, v2, s36
	s_delay_alu instid0(VALU_DEP_1) | instskip(SKIP_1) | instid1(VALU_DEP_1)
	s_cmp_lg_u32 s2, 0
	s_add_co_ci_u32 s2, s35, s37
	v_mul_hi_u32 v12, v6, v8
	s_wait_alu 0xfffe
	v_mad_co_u64_u32 v[2:3], null, v6, s2, 0
	v_mad_co_u64_u32 v[8:9], null, v7, v8, 0
	;; [unrolled: 1-line block ×3, first 2 shown]
	s_delay_alu instid0(VALU_DEP_3) | instskip(SKIP_1) | instid1(VALU_DEP_4)
	v_add_co_u32 v2, vcc_lo, v12, v2
	s_wait_alu 0xfffd
	v_add_co_ci_u32_e32 v3, vcc_lo, 0, v3, vcc_lo
	s_delay_alu instid0(VALU_DEP_2) | instskip(SKIP_1) | instid1(VALU_DEP_2)
	v_add_co_u32 v2, vcc_lo, v2, v8
	s_wait_alu 0xfffd
	v_add_co_ci_u32_e32 v2, vcc_lo, v3, v9, vcc_lo
	s_wait_alu 0xfffd
	v_add_co_ci_u32_e32 v3, vcc_lo, 0, v11, vcc_lo
	s_delay_alu instid0(VALU_DEP_2) | instskip(SKIP_1) | instid1(VALU_DEP_2)
	v_add_co_u32 v8, vcc_lo, v2, v10
	s_wait_alu 0xfffd
	v_add_co_ci_u32_e32 v9, vcc_lo, 0, v3, vcc_lo
	s_delay_alu instid0(VALU_DEP_2) | instskip(SKIP_1) | instid1(VALU_DEP_3)
	v_mul_lo_u32 v10, s29, v8
	v_mad_co_u64_u32 v[2:3], null, s28, v8, 0
	v_mul_lo_u32 v11, s28, v9
	s_delay_alu instid0(VALU_DEP_2) | instskip(NEXT) | instid1(VALU_DEP_2)
	v_sub_co_u32 v2, vcc_lo, v6, v2
	v_add3_u32 v3, v3, v11, v10
	s_delay_alu instid0(VALU_DEP_1) | instskip(SKIP_1) | instid1(VALU_DEP_1)
	v_sub_nc_u32_e32 v10, v7, v3
	s_wait_alu 0xfffd
	v_subrev_co_ci_u32_e64 v10, s2, s29, v10, vcc_lo
	v_add_co_u32 v11, s2, v8, 2
	s_wait_alu 0xf1ff
	v_add_co_ci_u32_e64 v12, s2, 0, v9, s2
	v_sub_co_u32 v13, s2, v2, s28
	v_sub_co_ci_u32_e32 v3, vcc_lo, v7, v3, vcc_lo
	s_wait_alu 0xf1ff
	v_subrev_co_ci_u32_e64 v10, s2, 0, v10, s2
	s_delay_alu instid0(VALU_DEP_3) | instskip(NEXT) | instid1(VALU_DEP_3)
	v_cmp_le_u32_e32 vcc_lo, s28, v13
	v_cmp_eq_u32_e64 s2, s29, v3
	s_wait_alu 0xfffd
	v_cndmask_b32_e64 v13, 0, -1, vcc_lo
	v_cmp_le_u32_e32 vcc_lo, s29, v10
	s_wait_alu 0xfffd
	v_cndmask_b32_e64 v14, 0, -1, vcc_lo
	v_cmp_le_u32_e32 vcc_lo, s28, v2
	;; [unrolled: 3-line block ×3, first 2 shown]
	s_wait_alu 0xfffd
	v_cndmask_b32_e64 v15, 0, -1, vcc_lo
	v_cmp_eq_u32_e32 vcc_lo, s29, v10
	s_wait_alu 0xf1ff
	s_delay_alu instid0(VALU_DEP_2)
	v_cndmask_b32_e64 v2, v15, v2, s2
	s_wait_alu 0xfffd
	v_cndmask_b32_e32 v10, v14, v13, vcc_lo
	v_add_co_u32 v13, vcc_lo, v8, 1
	s_wait_alu 0xfffd
	v_add_co_ci_u32_e32 v14, vcc_lo, 0, v9, vcc_lo
	s_delay_alu instid0(VALU_DEP_3) | instskip(SKIP_1) | instid1(VALU_DEP_2)
	v_cmp_ne_u32_e32 vcc_lo, 0, v10
	s_wait_alu 0xfffd
	v_dual_cndmask_b32 v3, v14, v12 :: v_dual_cndmask_b32 v10, v13, v11
	v_cmp_ne_u32_e32 vcc_lo, 0, v2
	s_wait_alu 0xfffd
	s_delay_alu instid0(VALU_DEP_2)
	v_dual_cndmask_b32 v107, v9, v3 :: v_dual_cndmask_b32 v106, v8, v10
.LBB0_4:                                ;   in Loop: Header=BB0_2 Depth=1
	s_wait_alu 0xfffe
	s_and_not1_saveexec_b32 s2, s30
	s_cbranch_execz .LBB0_6
; %bb.5:                                ;   in Loop: Header=BB0_2 Depth=1
	v_cvt_f32_u32_e32 v2, s28
	s_sub_co_i32 s30, 0, s28
	v_mov_b32_e32 v107, v1
	s_delay_alu instid0(VALU_DEP_2) | instskip(NEXT) | instid1(TRANS32_DEP_1)
	v_rcp_iflag_f32_e32 v2, v2
	v_mul_f32_e32 v2, 0x4f7ffffe, v2
	s_delay_alu instid0(VALU_DEP_1) | instskip(SKIP_1) | instid1(VALU_DEP_1)
	v_cvt_u32_f32_e32 v2, v2
	s_wait_alu 0xfffe
	v_mul_lo_u32 v3, s30, v2
	s_delay_alu instid0(VALU_DEP_1) | instskip(NEXT) | instid1(VALU_DEP_1)
	v_mul_hi_u32 v3, v2, v3
	v_add_nc_u32_e32 v2, v2, v3
	s_delay_alu instid0(VALU_DEP_1) | instskip(NEXT) | instid1(VALU_DEP_1)
	v_mul_hi_u32 v2, v6, v2
	v_mul_lo_u32 v3, v2, s28
	v_add_nc_u32_e32 v8, 1, v2
	s_delay_alu instid0(VALU_DEP_2) | instskip(NEXT) | instid1(VALU_DEP_1)
	v_sub_nc_u32_e32 v3, v6, v3
	v_subrev_nc_u32_e32 v9, s28, v3
	v_cmp_le_u32_e32 vcc_lo, s28, v3
	s_wait_alu 0xfffd
	s_delay_alu instid0(VALU_DEP_2) | instskip(NEXT) | instid1(VALU_DEP_1)
	v_dual_cndmask_b32 v3, v3, v9 :: v_dual_cndmask_b32 v2, v2, v8
	v_cmp_le_u32_e32 vcc_lo, s28, v3
	s_delay_alu instid0(VALU_DEP_2) | instskip(SKIP_1) | instid1(VALU_DEP_1)
	v_add_nc_u32_e32 v8, 1, v2
	s_wait_alu 0xfffd
	v_cndmask_b32_e32 v106, v2, v8, vcc_lo
.LBB0_6:                                ;   in Loop: Header=BB0_2 Depth=1
	s_wait_alu 0xfffe
	s_or_b32 exec_lo, exec_lo, s2
	v_mul_lo_u32 v8, v107, s28
	s_delay_alu instid0(VALU_DEP_2)
	v_mul_lo_u32 v9, v106, s29
	s_load_b64 s[30:31], s[22:23], 0x0
	v_mad_co_u64_u32 v[2:3], null, v106, s28, 0
	s_load_b64 s[28:29], s[20:21], 0x0
	s_add_nc_u64 s[24:25], s[24:25], 1
	s_add_nc_u64 s[20:21], s[20:21], 8
	s_wait_alu 0xfffe
	v_cmp_ge_u64_e64 s2, s[24:25], s[6:7]
	s_add_nc_u64 s[22:23], s[22:23], 8
	s_add_nc_u64 s[26:27], s[26:27], 8
	v_add3_u32 v3, v3, v9, v8
	v_sub_co_u32 v2, vcc_lo, v6, v2
	s_wait_alu 0xfffd
	s_delay_alu instid0(VALU_DEP_2) | instskip(SKIP_2) | instid1(VALU_DEP_1)
	v_sub_co_ci_u32_e32 v3, vcc_lo, v7, v3, vcc_lo
	s_and_b32 vcc_lo, exec_lo, s2
	s_wait_kmcnt 0x0
	v_mul_lo_u32 v6, s30, v3
	v_mul_lo_u32 v7, s31, v2
	v_mad_co_u64_u32 v[4:5], null, s30, v2, v[4:5]
	v_mul_lo_u32 v3, s28, v3
	v_mul_lo_u32 v8, s29, v2
	v_mad_co_u64_u32 v[136:137], null, s28, v2, v[136:137]
	s_delay_alu instid0(VALU_DEP_4) | instskip(NEXT) | instid1(VALU_DEP_2)
	v_add3_u32 v5, v7, v5, v6
	v_add3_u32 v137, v8, v137, v3
	s_wait_alu 0xfffe
	s_cbranch_vccnz .LBB0_9
; %bb.7:                                ;   in Loop: Header=BB0_2 Depth=1
	v_dual_mov_b32 v6, v106 :: v_dual_mov_b32 v7, v107
	s_branch .LBB0_2
.LBB0_8:
	v_dual_mov_b32 v137, v5 :: v_dual_mov_b32 v136, v4
	s_delay_alu instid0(VALU_DEP_2)
	v_dual_mov_b32 v107, v7 :: v_dual_mov_b32 v106, v6
.LBB0_9:
	s_load_b64 s[0:1], s[0:1], 0x28
	v_mul_hi_u32 v1, 0x4ec4ec5, v0
	s_lshl_b64 s[6:7], s[6:7], 3
                                        ; implicit-def: $vgpr146
                                        ; implicit-def: $vgpr113
                                        ; implicit-def: $vgpr133
                                        ; implicit-def: $vgpr117
                                        ; implicit-def: $vgpr134
                                        ; implicit-def: $vgpr114
                                        ; implicit-def: $vgpr135
                                        ; implicit-def: $vgpr104
                                        ; implicit-def: $vgpr105
                                        ; implicit-def: $vgpr108
	s_wait_kmcnt 0x0
	v_cmp_gt_u64_e32 vcc_lo, s[0:1], v[106:107]
	v_cmp_le_u64_e64 s0, s[0:1], v[106:107]
	s_delay_alu instid0(VALU_DEP_1)
	s_and_saveexec_b32 s1, s0
	s_wait_alu 0xfffe
	s_xor_b32 s0, exec_lo, s1
; %bb.10:
	v_mul_u32_u24_e32 v1, 52, v1
                                        ; implicit-def: $vgpr4_vgpr5
	s_delay_alu instid0(VALU_DEP_1) | instskip(NEXT) | instid1(VALU_DEP_1)
	v_sub_nc_u32_e32 v146, v0, v1
                                        ; implicit-def: $vgpr1
                                        ; implicit-def: $vgpr0
	v_add_nc_u32_e32 v113, 52, v146
	v_add_nc_u32_e32 v133, 0x68, v146
	;; [unrolled: 1-line block ×9, first 2 shown]
; %bb.11:
	s_wait_alu 0xfffe
	s_or_saveexec_b32 s1, s0
	s_add_nc_u64 s[2:3], s[14:15], s[6:7]
                                        ; implicit-def: $vgpr26_vgpr27
                                        ; implicit-def: $vgpr2_vgpr3
                                        ; implicit-def: $vgpr18_vgpr19
                                        ; implicit-def: $vgpr10_vgpr11
                                        ; implicit-def: $vgpr70_vgpr71
                                        ; implicit-def: $vgpr34_vgpr35
                                        ; implicit-def: $vgpr74_vgpr75
                                        ; implicit-def: $vgpr42_vgpr43
                                        ; implicit-def: $vgpr78_vgpr79
                                        ; implicit-def: $vgpr46_vgpr47
                                        ; implicit-def: $vgpr86_vgpr87
                                        ; implicit-def: $vgpr50_vgpr51
                                        ; implicit-def: $vgpr94_vgpr95
                                        ; implicit-def: $vgpr58_vgpr59
                                        ; implicit-def: $vgpr90_vgpr91
                                        ; implicit-def: $vgpr54_vgpr55
                                        ; implicit-def: $vgpr98_vgpr99
                                        ; implicit-def: $vgpr66_vgpr67
                                        ; implicit-def: $vgpr102_vgpr103
                                        ; implicit-def: $vgpr62_vgpr63
                                        ; implicit-def: $vgpr82_vgpr83
                                        ; implicit-def: $vgpr38_vgpr39
                                        ; implicit-def: $vgpr22_vgpr23
                                        ; implicit-def: $vgpr14_vgpr15
                                        ; implicit-def: $vgpr30_vgpr31
                                        ; implicit-def: $vgpr6_vgpr7
	s_wait_alu 0xfffe
	s_xor_b32 exec_lo, exec_lo, s1
	s_cbranch_execz .LBB0_13
; %bb.12:
	s_add_nc_u64 s[6:7], s[12:13], s[6:7]
	v_mul_u32_u24_e32 v1, 52, v1
	s_load_b64 s[6:7], s[6:7], 0x0
	v_lshlrev_b64_e32 v[4:5], 4, v[4:5]
	s_delay_alu instid0(VALU_DEP_2) | instskip(NEXT) | instid1(VALU_DEP_1)
	v_sub_nc_u32_e32 v146, v0, v1
	v_add_nc_u32_e32 v14, 0x2a4, v146
	v_add_nc_u32_e32 v113, 52, v146
	v_mad_co_u64_u32 v[0:1], null, s18, v146, 0
	v_add_nc_u32_e32 v133, 0x68, v146
	s_delay_alu instid0(VALU_DEP_4) | instskip(NEXT) | instid1(VALU_DEP_4)
	v_mad_co_u64_u32 v[2:3], null, s18, v14, 0
	v_mad_co_u64_u32 v[6:7], null, s18, v113, 0
	v_add_nc_u32_e32 v16, 0x2d8, v146
	v_or_b32_e32 v21, 0x340, v146
	s_wait_kmcnt 0x0
	v_mul_lo_u32 v15, s7, v106
	v_mul_lo_u32 v17, s6, v107
	v_mad_co_u64_u32 v[10:11], null, s6, v106, 0
	v_mad_co_u64_u32 v[12:13], null, s19, v146, v[1:2]
	v_mov_b32_e32 v1, v3
	v_mov_b32_e32 v3, v7
	v_mad_co_u64_u32 v[8:9], null, s18, v16, 0
	v_add3_u32 v11, v11, v17, v15
	s_delay_alu instid0(VALU_DEP_4) | instskip(NEXT) | instid1(VALU_DEP_4)
	v_mad_co_u64_u32 v[13:14], null, s19, v14, v[1:2]
	v_mad_co_u64_u32 v[14:15], null, s19, v113, v[3:4]
	v_dual_mov_b32 v1, v12 :: v_dual_add_nc_u32 v134, 0xd0, v146
	v_mov_b32_e32 v7, v9
	v_lshlrev_b64_e32 v[9:10], 4, v[10:11]
	v_mov_b32_e32 v3, v13
	s_delay_alu instid0(VALU_DEP_4)
	v_lshlrev_b64_e32 v[0:1], 4, v[0:1]
	v_mad_co_u64_u32 v[32:33], null, s18, v134, 0
	v_mad_co_u64_u32 v[11:12], null, s19, v16, v[7:8]
	v_add_co_u32 v9, s0, s8, v9
	s_wait_alu 0xf1ff
	v_add_co_ci_u32_e64 v10, s0, s9, v10, s0
	v_mov_b32_e32 v7, v14
	s_delay_alu instid0(VALU_DEP_3) | instskip(SKIP_1) | instid1(VALU_DEP_3)
	v_add_co_u32 v40, s0, v9, v4
	s_wait_alu 0xf1ff
	v_add_co_ci_u32_e64 v41, s0, v10, v5, s0
	v_lshlrev_b64_e32 v[2:3], 4, v[2:3]
	v_dual_mov_b32 v9, v11 :: v_dual_add_nc_u32 v38, 0x374, v146
	v_add_nc_u32_e32 v16, 0x30c, v146
	v_add_co_u32 v0, s0, v40, v0
	v_lshlrev_b64_e32 v[4:5], 4, v[6:7]
	s_wait_alu 0xf1ff
	v_add_co_ci_u32_e64 v1, s0, v41, v1, s0
	v_mad_co_u64_u32 v[10:11], null, s18, v133, 0
	v_add_co_u32 v2, s0, v40, v2
	v_lshlrev_b64_e32 v[6:7], 4, v[8:9]
	v_mad_co_u64_u32 v[8:9], null, s18, v16, 0
	s_wait_alu 0xf1ff
	v_add_co_ci_u32_e64 v3, s0, v41, v3, s0
	v_add_co_u32 v12, s0, v40, v4
	s_wait_alu 0xf1ff
	v_add_co_ci_u32_e64 v13, s0, v41, v5, s0
	v_mad_co_u64_u32 v[34:35], null, s18, v38, 0
	s_delay_alu instid0(VALU_DEP_3) | instskip(SKIP_3) | instid1(VALU_DEP_3)
	v_mad_co_u64_u32 v[4:5], null, s19, v133, v[11:12]
	v_dual_mov_b32 v5, v9 :: v_dual_add_nc_u32 v114, 0x104, v146
	v_add_nc_u32_e32 v117, 0x9c, v146
	v_mad_co_u64_u32 v[19:20], null, s18, v21, 0
	v_mad_co_u64_u32 v[16:17], null, s19, v16, v[5:6]
	s_delay_alu instid0(VALU_DEP_3)
	v_mad_co_u64_u32 v[17:18], null, s18, v117, 0
	v_add_co_u32 v14, s0, v40, v6
	s_wait_alu 0xf1ff
	v_add_co_ci_u32_e64 v15, s0, v41, v7, s0
	v_dual_mov_b32 v11, v4 :: v_dual_add_nc_u32 v44, 0x3a8, v146
	s_clause 0x3
	global_load_b128 v[4:7], v[0:1], off
	global_load_b128 v[24:27], v[2:3], off
	;; [unrolled: 1-line block ×4, first 2 shown]
	v_dual_mov_b32 v12, v18 :: v_dual_mov_b32 v13, v20
	v_add_nc_u32_e32 v51, 0x3dc, v146
	v_mad_co_u64_u32 v[36:37], null, s18, v114, 0
	v_lshlrev_b64_e32 v[10:11], 4, v[10:11]
	s_delay_alu instid0(VALU_DEP_4)
	v_mad_co_u64_u32 v[14:15], null, s19, v117, v[12:13]
	v_add_nc_u32_e32 v135, 0x138, v146
	v_add_nc_u32_e32 v53, 0x16c, v146
	;; [unrolled: 1-line block ×3, first 2 shown]
	v_add_co_u32 v10, s0, v40, v10
	s_wait_alu 0xf1ff
	v_add_co_ci_u32_e64 v11, s0, v41, v11, s0
	v_mad_co_u64_u32 v[12:13], null, s19, v21, v[13:14]
	v_mov_b32_e32 v18, v14
	v_add_nc_u32_e32 v104, 0x1a0, v146
	v_mad_co_u64_u32 v[49:50], null, s18, v53, 0
	v_add_nc_u32_e32 v105, 0x208, v146
	s_delay_alu instid0(VALU_DEP_4) | instskip(SKIP_4) | instid1(VALU_DEP_3)
	v_lshlrev_b64_e32 v[13:14], 4, v[17:18]
	v_mov_b32_e32 v20, v12
	v_dual_mov_b32 v12, v33 :: v_dual_add_nc_u32 v63, 0x514, v146
	v_add_nc_u32_e32 v60, 0x23c, v146
	v_add_nc_u32_e32 v108, 0x270, v146
	v_mad_co_u64_u32 v[17:18], null, s19, v134, v[12:13]
	v_mov_b32_e32 v12, v35
	s_delay_alu instid0(VALU_DEP_3) | instskip(NEXT) | instid1(VALU_DEP_2)
	v_mad_co_u64_u32 v[61:62], null, s18, v108, 0
	v_mad_co_u64_u32 v[38:39], null, s19, v38, v[12:13]
	s_delay_alu instid0(VALU_DEP_4) | instskip(NEXT) | instid1(VALU_DEP_1)
	v_mov_b32_e32 v33, v17
	v_lshlrev_b64_e32 v[32:33], 4, v[32:33]
	s_delay_alu instid0(VALU_DEP_3) | instskip(SKIP_1) | instid1(VALU_DEP_2)
	v_mov_b32_e32 v35, v38
	v_mad_co_u64_u32 v[38:39], null, s18, v44, 0
	v_lshlrev_b64_e32 v[34:35], 4, v[34:35]
	s_delay_alu instid0(VALU_DEP_2) | instskip(NEXT) | instid1(VALU_DEP_3)
	v_mad_co_u64_u32 v[44:45], null, s19, v44, v[39:40]
	v_mad_co_u64_u32 v[42:43], null, s19, v114, v[37:38]
	s_delay_alu instid0(VALU_DEP_2)
	v_mov_b32_e32 v39, v44
	v_mad_co_u64_u32 v[44:45], null, s18, v51, 0
	v_mov_b32_e32 v9, v16
	v_lshlrev_b64_e32 v[15:16], 4, v[19:20]
	v_mov_b32_e32 v37, v42
	v_mad_co_u64_u32 v[42:43], null, s18, v135, 0
	s_delay_alu instid0(VALU_DEP_4) | instskip(NEXT) | instid1(VALU_DEP_3)
	v_lshlrev_b64_e32 v[8:9], 4, v[8:9]
	v_lshlrev_b64_e32 v[36:37], 4, v[36:37]
	s_delay_alu instid0(VALU_DEP_2) | instskip(SKIP_1) | instid1(VALU_DEP_3)
	v_add_co_u32 v8, s0, v40, v8
	s_wait_alu 0xf1ff
	v_add_co_ci_u32_e64 v9, s0, v41, v9, s0
	v_add_co_u32 v20, s0, v40, v13
	s_wait_alu 0xf1ff
	v_add_co_ci_u32_e64 v21, s0, v41, v14, s0
	;; [unrolled: 3-line block ×4, first 2 shown]
	v_add_co_u32 v34, s0, v40, v34
	v_mad_co_u64_u32 v[46:47], null, s19, v135, v[43:44]
	s_wait_alu 0xf1ff
	v_add_co_ci_u32_e64 v35, s0, v41, v35, s0
	v_add_co_u32 v47, s0, v40, v36
	s_wait_alu 0xf1ff
	v_add_co_ci_u32_e64 v48, s0, v41, v37, s0
	v_lshlrev_b64_e32 v[36:37], 4, v[38:39]
	v_dual_mov_b32 v38, v45 :: v_dual_mov_b32 v43, v46
	v_add_nc_u32_e32 v46, 0x410, v146
	s_clause 0x3
	global_load_b128 v[12:15], v[10:11], off
	global_load_b128 v[16:19], v[8:9], off
	;; [unrolled: 1-line block ×4, first 2 shown]
	v_mad_co_u64_u32 v[38:39], null, s19, v51, v[38:39]
	v_add_co_u32 v51, s0, v40, v36
	s_wait_alu 0xf1ff
	v_add_co_ci_u32_e64 v52, s0, v41, v37, s0
	v_lshlrev_b64_e32 v[36:37], 4, v[42:43]
	v_mov_b32_e32 v39, v50
	v_mad_co_u64_u32 v[42:43], null, s18, v46, 0
	v_mov_b32_e32 v45, v38
	s_delay_alu instid0(VALU_DEP_3) | instskip(SKIP_1) | instid1(VALU_DEP_4)
	v_mad_co_u64_u32 v[38:39], null, s19, v53, v[39:40]
	v_add_co_u32 v53, s0, v40, v36
	v_mov_b32_e32 v39, v43
	s_wait_alu 0xf1ff
	v_add_co_ci_u32_e64 v54, s0, v41, v37, s0
	v_lshlrev_b64_e32 v[36:37], 4, v[44:45]
	v_mad_co_u64_u32 v[44:45], null, s18, v104, 0
	v_mov_b32_e32 v50, v38
	v_mad_co_u64_u32 v[38:39], null, s19, v46, v[39:40]
	v_add_nc_u32_e32 v46, 0x444, v146
	v_add_co_u32 v55, s0, v40, v36
	s_wait_alu 0xf1ff
	v_add_co_ci_u32_e64 v56, s0, v41, v37, s0
	v_lshlrev_b64_e32 v[36:37], 4, v[49:50]
	v_mov_b32_e32 v39, v45
	v_mad_co_u64_u32 v[49:50], null, s18, v46, 0
	v_mov_b32_e32 v43, v38
	s_delay_alu instid0(VALU_DEP_3) | instskip(SKIP_1) | instid1(VALU_DEP_4)
	v_mad_co_u64_u32 v[38:39], null, s19, v104, v[39:40]
	v_add_co_u32 v57, s0, v40, v36
	v_mov_b32_e32 v39, v50
	s_wait_alu 0xf1ff
	v_add_co_ci_u32_e64 v58, s0, v41, v37, s0
	v_lshlrev_b64_e32 v[36:37], 4, v[42:43]
	v_mad_co_u64_u32 v[42:43], null, s18, v59, 0
	v_mov_b32_e32 v45, v38
	v_mad_co_u64_u32 v[38:39], null, s19, v46, v[39:40]
	v_add_nc_u32_e32 v46, 0x478, v146
	v_add_co_u32 v64, s0, v40, v36
	s_wait_alu 0xf1ff
	v_add_co_ci_u32_e64 v65, s0, v41, v37, s0
	v_lshlrev_b64_e32 v[36:37], 4, v[44:45]
	v_mov_b32_e32 v39, v43
	v_mad_co_u64_u32 v[44:45], null, s18, v46, 0
	v_mov_b32_e32 v50, v38
	s_delay_alu instid0(VALU_DEP_3) | instskip(SKIP_1) | instid1(VALU_DEP_4)
	v_mad_co_u64_u32 v[38:39], null, s19, v59, v[39:40]
	v_add_co_u32 v66, s0, v40, v36
	v_mov_b32_e32 v39, v45
	s_wait_alu 0xf1ff
	v_add_co_ci_u32_e64 v67, s0, v41, v37, s0
	v_lshlrev_b64_e32 v[36:37], 4, v[49:50]
	v_mov_b32_e32 v43, v38
	v_mad_co_u64_u32 v[49:50], null, s18, v105, 0
	v_mad_co_u64_u32 v[38:39], null, s19, v46, v[39:40]
	v_add_nc_u32_e32 v59, 0x4ac, v146
	v_add_co_u32 v76, s0, v40, v36
	s_wait_alu 0xf1ff
	v_add_co_ci_u32_e64 v77, s0, v41, v37, s0
	v_lshlrev_b64_e32 v[36:37], 4, v[42:43]
	v_mad_co_u64_u32 v[42:43], null, s18, v59, 0
	v_mov_b32_e32 v39, v50
	v_mov_b32_e32 v45, v38
	s_delay_alu instid0(VALU_DEP_4) | instskip(NEXT) | instid1(VALU_DEP_3)
	v_add_co_u32 v84, s0, v40, v36
	v_mad_co_u64_u32 v[38:39], null, s19, v105, v[39:40]
	v_mov_b32_e32 v36, v43
	s_delay_alu instid0(VALU_DEP_4) | instskip(SKIP_4) | instid1(VALU_DEP_4)
	v_lshlrev_b64_e32 v[43:44], 4, v[44:45]
	v_mad_co_u64_u32 v[45:46], null, s18, v60, 0
	s_wait_alu 0xf1ff
	v_add_co_ci_u32_e64 v85, s0, v41, v37, s0
	v_mov_b32_e32 v50, v38
	v_add_co_u32 v86, s0, v40, v43
	s_wait_alu 0xf1ff
	v_add_co_ci_u32_e64 v87, s0, v41, v44, s0
	v_dual_mov_b32 v39, v46 :: v_dual_add_nc_u32 v44, 0x4e0, v146
	v_mad_co_u64_u32 v[36:37], null, s19, v59, v[36:37]
	v_lshlrev_b64_e32 v[37:38], 4, v[49:50]
	s_delay_alu instid0(VALU_DEP_3) | instskip(NEXT) | instid1(VALU_DEP_4)
	v_mad_co_u64_u32 v[49:50], null, s19, v60, v[39:40]
	v_mad_co_u64_u32 v[59:60], null, s18, v44, 0
	v_mov_b32_e32 v39, v62
	s_delay_alu instid0(VALU_DEP_4)
	v_add_co_u32 v88, s0, v40, v37
	v_mov_b32_e32 v43, v36
	s_wait_alu 0xf1ff
	v_add_co_ci_u32_e64 v89, s0, v41, v38, s0
	v_mov_b32_e32 v38, v60
	v_mov_b32_e32 v46, v49
	v_lshlrev_b64_e32 v[36:37], 4, v[42:43]
	v_mad_co_u64_u32 v[49:50], null, s19, v108, v[39:40]
	s_delay_alu instid0(VALU_DEP_4)
	v_mad_co_u64_u32 v[42:43], null, s19, v44, v[38:39]
	v_mad_co_u64_u32 v[43:44], null, s18, v63, 0
	v_lshlrev_b64_e32 v[45:46], 4, v[45:46]
	v_add_co_u32 v90, s0, v40, v36
	v_mov_b32_e32 v62, v49
	v_mov_b32_e32 v60, v42
	s_wait_alu 0xf1ff
	v_add_co_ci_u32_e64 v91, s0, v41, v37, s0
	v_mov_b32_e32 v42, v44
	v_add_co_u32 v92, s0, v40, v45
	s_wait_alu 0xf1ff
	v_add_co_ci_u32_e64 v93, s0, v41, v46, s0
	s_delay_alu instid0(VALU_DEP_3)
	v_mad_co_u64_u32 v[49:50], null, s19, v63, v[42:43]
	v_lshlrev_b64_e32 v[45:46], 4, v[59:60]
	s_clause 0x3
	global_load_b128 v[36:39], v[32:33], off
	global_load_b128 v[68:71], v[34:35], off
	;; [unrolled: 1-line block ×4, first 2 shown]
	v_lshlrev_b64_e32 v[47:48], 4, v[61:62]
	v_mov_b32_e32 v44, v49
	v_add_co_u32 v94, s0, v40, v45
	s_wait_alu 0xf1ff
	v_add_co_ci_u32_e64 v95, s0, v41, v46, s0
	s_delay_alu instid0(VALU_DEP_3) | instskip(SKIP_3) | instid1(VALU_DEP_3)
	v_lshlrev_b64_e32 v[42:43], 4, v[43:44]
	v_add_co_u32 v109, s0, v40, v47
	s_wait_alu 0xf1ff
	v_add_co_ci_u32_e64 v110, s0, v41, v48, s0
	v_add_co_u32 v111, s0, v40, v42
	s_wait_alu 0xf1ff
	v_add_co_ci_u32_e64 v112, s0, v41, v43, s0
	s_clause 0xd
	global_load_b128 v[60:63], v[53:54], off
	global_load_b128 v[72:75], v[55:56], off
	;; [unrolled: 1-line block ×14, first 2 shown]
.LBB0_13:
	s_or_b32 exec_lo, exec_lo, s1
	s_wait_loadcnt 0x18
	v_add_f64_e64 v[111:112], v[4:5], -v[24:25]
	s_wait_loadcnt 0x16
	v_add_f64_e64 v[28:29], v[0:1], -v[28:29]
	;; [unrolled: 2-line block ×13, first 2 shown]
	v_add_f64_e64 v[72:73], v[6:7], -v[26:27]
	s_clause 0x2
	scratch_store_b32 off, v117, off offset:68
	scratch_store_b32 off, v114, off offset:12
	scratch_store_b32 off, v113, off
	v_lshl_add_u32 v17, v113, 4, 0
	v_lshl_add_u32 v93, v114, 4, 0
	;; [unrolled: 1-line block ×7, first 2 shown]
	s_load_b64 s[2:3], s[2:3], 0x0
	scratch_store_b32 off, v133, off offset:372 ; 4-byte Folded Spill
	v_add_f64_e64 v[80:81], v[14:15], -v[18:19]
	v_add_f64_e64 v[76:77], v[2:3], -v[30:31]
	;; [unrolled: 1-line block ×5, first 2 shown]
	s_mov_b32 s18, 0x66966769
	s_mov_b32 s26, 0x24c2f84
	;; [unrolled: 1-line block ×9, first 2 shown]
	v_fma_f64 v[109:110], v[4:5], 2.0, -v[111:112]
	v_fma_f64 v[26:27], v[0:1], 2.0, -v[28:29]
	;; [unrolled: 1-line block ×13, first 2 shown]
	v_lshl_add_u32 v12, v104, 4, 0
	v_dual_mov_b32 v37, v20 :: v_dual_lshlrev_b32 v0, 3, v104
	v_lshlrev_b32_e32 v5, 3, v133
	v_lshlrev_b32_e32 v8, 3, v134
	v_lshl_add_u32 v13, v105, 4, 0
	v_lshl_add_u32 v36, v108, 4, 0
	s_clause 0x2
	scratch_store_b32 off, v5, off offset:24
	scratch_store_b32 off, v134, off offset:376
	;; [unrolled: 1-line block ×3, first 2 shown]
	v_sub_nc_u32_e32 v19, v12, v0
	v_add_f64_e64 v[40:41], v[38:39], -v[70:71]
	v_add_f64_e64 v[64:65], v[62:63], -v[74:75]
	v_add_f64_e64 v[44:45], v[42:43], -v[102:103]
	v_add_f64_e64 v[48:49], v[46:47], -v[98:99]
	v_add_f64_e64 v[56:57], v[54:55], -v[86:87]
	v_add_f64_e64 v[52:53], v[50:51], -v[90:91]
	v_add_f64_e64 v[60:61], v[58:59], -v[94:95]
	v_fma_f64 v[70:71], v[6:7], 2.0, -v[72:73]
	v_fma_f64 v[74:75], v[2:3], 2.0, -v[76:77]
	;; [unrolled: 1-line block ×6, first 2 shown]
	v_lshlrev_b32_e32 v1, 3, v105
	ds_store_b128 v16, v[109:112]
	ds_store_b128 v17, v[26:29]
	;; [unrolled: 1-line block ×7, first 2 shown]
	ds_store_b128 v16, v[138:141] offset:5824
	ds_store_b128 v12, v[151:154]
	ds_store_b128 v16, v[155:158] offset:7488
	ds_store_b128 v13, v[168:171]
	;; [unrolled: 2-line block ×3, first 2 shown]
	v_mov_b32_e32 v154, v19
	global_wb scope:SCOPE_SE
	s_wait_storecnt_dscnt 0x0
	s_wait_kmcnt 0x0
	s_barrier_signal -1
	s_barrier_wait -1
	global_inv scope:SCOPE_SE
	scratch_load_b32 v0, off, off           ; 4-byte Folded Reload
	v_lshlrev_b32_e32 v4, 3, v108
	v_sub_nc_u32_e32 v18, v13, v1
	v_lshlrev_b32_e32 v1, 3, v135
	ds_load_b64 v[120:121], v19
	s_mov_b32 s31, 0xbfcea1e5
	v_sub_nc_u32_e32 v9, v36, v4
	ds_load_b64 v[116:117], v18
	v_lshl_add_u32 v4, v146, 3, 0
	v_mov_b32_e32 v152, v18
	scratch_store_b32 off, v135, off offset:380 ; 4-byte Folded Spill
	v_mov_b32_e32 v151, v9
	ds_load_b64 v[112:113], v9
	v_dual_mov_b32 v95, v4 :: v_dual_add_nc_u32 v6, 0x1000, v4
	v_add_nc_u32_e32 v90, 0xc00, v4
	v_add_nc_u32_e32 v28, 0x800, v4
	scratch_store_b32 off, v152, off offset:88 ; 4-byte Folded Spill
	v_fma_f64 v[38:39], v[38:39], 2.0, -v[40:41]
	v_fma_f64 v[62:63], v[62:63], 2.0, -v[64:65]
	v_mov_b32_e32 v105, v90
	v_fma_f64 v[42:43], v[42:43], 2.0, -v[44:45]
	v_fma_f64 v[46:47], v[46:47], 2.0, -v[48:49]
	;; [unrolled: 1-line block ×5, first 2 shown]
	v_mov_b32_e32 v150, v6
	v_mov_b32_e32 v102, v28
	s_mov_b32 s37, 0x3fefc445
	s_wait_alu 0xfffe
	s_mov_b32 s36, s18
	s_mov_b32 s12, 0x42a4c3d2
	;; [unrolled: 1-line block ×17, first 2 shown]
	s_wait_alu 0xfffe
	s_mov_b32 s40, s6
	s_mov_b32 s44, s26
	;; [unrolled: 1-line block ×8, first 2 shown]
	scratch_store_b32 off, v151, off offset:84 ; 4-byte Folded Spill
	s_wait_loadcnt 0x0
	v_lshl_add_u32 v3, v0, 3, 0
	v_sub_nc_u32_e32 v0, v148, v5
	s_delay_alu instid0(VALU_DEP_2) | instskip(NEXT) | instid1(VALU_DEP_2)
	v_dual_mov_b32 v94, v3 :: v_dual_add_nc_u32 v179, 0x2000, v4
	v_mov_b32_e32 v15, v0
	s_clause 0x1
	scratch_store_b32 off, v1, off offset:36
	scratch_store_b32 off, v37, off offset:40
	v_sub_nc_u32_e32 v2, v149, v8
	scratch_store_b32 off, v94, off offset:48 ; 4-byte Folded Spill
	v_sub_nc_u32_e32 v1, v20, v1
	v_add_nc_u32_e32 v5, 0x1c00, v4
	scratch_store_b32 off, v15, off offset:4 ; 4-byte Folded Spill
	v_mov_b32_e32 v14, v2
	v_add_nc_u32_e32 v104, 0x1800, v4
	v_dual_mov_b32 v140, v1 :: v_dual_mov_b32 v147, v5
	s_clause 0x1
	scratch_store_b32 off, v154, off offset:60
	scratch_store_b32 off, v14, off offset:52
	ds_load_b64 v[118:119], v1
	ds_load_b64 v[100:101], v2
	;; [unrolled: 1-line block ×3, first 2 shown]
	scratch_store_b32 off, v140, off offset:64 ; 4-byte Folded Spill
	ds_load_b64 v[96:97], v0
	ds_load_b64 v[110:111], v4 offset:10400
	ds_load_2addr_b64 v[0:3], v4 offset1:156
	scratch_store_b32 off, v150, off offset:76 ; 4-byte Folded Spill
	ds_load_2addr_b64 v[24:27], v6 offset0:164 offset1:216
	ds_load_2addr_b64 v[20:23], v104 offset0:12 offset1:64
	;; [unrolled: 1-line block ×4, first 2 shown]
	scratch_store_b32 off, v147, off offset:72 ; 4-byte Folded Spill
	ds_load_2addr_b64 v[8:11], v179 offset0:68 offset1:120
	ds_load_2addr_b64 v[4:7], v179 offset0:172 offset1:224
	;; [unrolled: 1-line block ×3, first 2 shown]
	s_clause 0x1
	scratch_store_b32 off, v102, off offset:44
	scratch_store_b32 off, v105, off offset:56
	ds_load_2addr_b64 v[28:31], v90 offset0:84 offset1:188
	global_wb scope:SCOPE_SE
	s_wait_storecnt_dscnt 0x0
	s_barrier_signal -1
	s_barrier_wait -1
	global_inv scope:SCOPE_SE
	ds_store_b128 v16, v[70:73]
	ds_store_b128 v17, v[74:77]
	v_and_b32_e32 v17, 1, v146
	scratch_store_b32 off, v148, off offset:16 ; 4-byte Folded Spill
	ds_store_b128 v148, v[78:81]
	ds_store_b128 v92, v[82:85]
	scratch_store_b32 off, v149, off offset:20 ; 4-byte Folded Spill
	ds_store_b128 v149, v[38:41]
	ds_store_b128 v93, v[86:89]
	;; [unrolled: 1-line block ×3, first 2 shown]
	ds_store_b128 v16, v[42:45] offset:5824
	ds_store_b128 v12, v[66:69]
	v_mul_u32_u24_e32 v12, 12, v17
	v_mov_b32_e32 v148, v17
	s_delay_alu instid0(VALU_DEP_2)
	v_lshlrev_b32_e32 v12, 4, v12
	scratch_store_b32 off, v148, off offset:96 ; 4-byte Folded Spill
	ds_store_b128 v16, v[46:49] offset:7488
	ds_store_b128 v13, v[54:57]
	ds_store_b128 v16, v[50:53] offset:9152
	ds_store_b128 v36, v[58:61]
	global_wb scope:SCOPE_SE
	s_wait_storecnt_dscnt 0x0
	s_barrier_signal -1
	s_barrier_wait -1
	global_inv scope:SCOPE_SE
	s_clause 0xb
	global_load_b128 v[48:51], v12, s[4:5] offset:176
	global_load_b128 v[40:43], v12, s[4:5]
	global_load_b128 v[88:91], v12, s[4:5] offset:16
	global_load_b128 v[44:47], v12, s[4:5] offset:160
	;; [unrolled: 1-line block ×10, first 2 shown]
	ds_load_2addr_b64 v[56:59], v179 offset0:172 offset1:224
	ds_load_b64 v[92:93], v15
	ds_load_b64 v[108:109], v94
	;; [unrolled: 1-line block ×3, first 2 shown]
	ds_load_b64 v[124:125], v95 offset:10400
	v_mov_b32_e32 v12, v95
	s_wait_loadcnt 0xb
	v_mul_f64_e32 v[68:69], v[6:7], v[50:51]
	s_wait_loadcnt 0xa
	v_mul_f64_e32 v[70:71], v[96:97], v[42:43]
	;; [unrolled: 2-line block ×3, first 2 shown]
	s_wait_dscnt 0x4
	v_mul_f64_e32 v[128:129], v[58:59], v[50:51]
	s_wait_loadcnt 0x8
	v_mul_f64_e32 v[126:127], v[10:11], v[46:47]
	s_wait_dscnt 0x3
	v_mul_f64_e32 v[138:139], v[92:93], v[42:43]
	s_wait_loadcnt 0x7
	v_mul_f64_e32 v[130:131], v[118:119], v[86:87]
	s_wait_loadcnt 0x6
	v_mul_f64_e32 v[134:135], v[144:145], v[54:55]
	v_mul_f64_e32 v[196:197], v[34:35], v[86:87]
	s_wait_loadcnt 0x5
	v_mul_f64_e32 v[202:203], v[120:121], v[82:83]
	;; [unrolled: 3-line block ×4, first 2 shown]
	v_mul_f64_e32 v[242:243], v[180:181], v[74:75]
	v_mul_f64_e32 v[210:211], v[182:183], v[38:39]
	;; [unrolled: 1-line block ×3, first 2 shown]
	v_fma_f64 v[15:16], v[58:59], v[48:49], -v[68:69]
	v_fma_f64 v[122:123], v[92:93], v[40:41], -v[70:71]
	ds_load_2addr_b64 v[92:95], v102 offset0:4 offset1:108
	s_wait_dscnt 0x2
	v_mul_f64_e32 v[102:103], v[114:115], v[90:91]
	v_fma_f64 v[114:115], v[114:115], v[88:89], -v[98:99]
	ds_load_2addr_b64 v[68:71], v179 offset0:68 offset1:120
	v_fma_f64 v[13:14], v[6:7], v[48:49], v[128:129]
	v_fma_f64 v[128:129], v[96:97], v[40:41], v[138:139]
	v_lshrrev_b32_e32 v6, 1, v146
	s_delay_alu instid0(VALU_DEP_1)
	v_mul_u32_u24_e32 v6, 26, v6
	s_wait_dscnt 0x1
	v_mul_f64_e32 v[177:178], v[92:93], v[90:91]
	v_mul_f64_e32 v[90:91], v[32:33], v[90:91]
	;; [unrolled: 1-line block ×3, first 2 shown]
	s_wait_dscnt 0x0
	v_mul_f64_e32 v[132:133], v[70:71], v[46:47]
	v_fma_f64 v[58:59], v[70:71], v[44:45], -v[126:127]
	v_dual_mov_b32 v168, v146 :: v_dual_mov_b32 v163, v16
	v_add_f64_e64 v[126:127], v[122:123], -v[15:16]
	v_mov_b32_e32 v162, v15
	s_clause 0x2
	scratch_store_b32 off, v12, off offset:92
	scratch_store_b64 off, v[114:115], off offset:196
	scratch_store_b64 off, v[162:163], off offset:100
	ds_load_b64 v[140:141], v140
	ds_load_b64 v[138:139], v154
	ds_load_2addr_b64 v[96:99], v105 offset0:84 offset1:188
	ds_load_2addr_b64 v[154:157], v147 offset0:92 offset1:144
	ds_load_b64 v[164:165], v152
	ds_load_b64 v[169:170], v151
	ds_load_2addr_b64 v[158:161], v150 offset0:164 offset1:216
	scratch_store_b32 off, v104, off offset:80 ; 4-byte Folded Spill
	ds_load_2addr_b64 v[173:176], v104 offset0:12 offset1:64
	ds_load_2addr_b64 v[190:193], v104 offset0:116 offset1:168
	v_fma_f64 v[104:105], v[32:33], v[88:89], v[177:178]
	v_fma_f64 v[32:33], v[94:95], v[84:85], -v[196:197]
	v_add_f64_e64 v[214:215], v[114:115], -v[58:59]
	s_wait_dscnt 0x8
	v_fma_f64 v[130:131], v[140:141], v[84:85], -v[130:131]
	s_wait_dscnt 0x7
	v_mul_f64_e32 v[200:201], v[138:139], v[82:83]
	s_wait_dscnt 0x6
	v_mul_f64_e32 v[204:205], v[96:97], v[82:83]
	s_wait_dscnt 0x5
	v_fma_f64 v[16:17], v[156:157], v[52:53], -v[134:135]
	v_fma_f64 v[82:83], v[10:11], v[44:45], v[132:133]
	v_dual_mov_b32 v10, v13 :: v_dual_mov_b32 v11, v14
	v_mul_f64_e32 v[198:199], v[140:141], v[86:87]
	v_mul_f64_e32 v[212:213], v[156:157], v[54:55]
	v_fma_f64 v[134:135], v[100:101], v[88:89], v[102:103]
	s_wait_dscnt 0x2
	v_mul_f64_e32 v[230:231], v[158:159], v[62:63]
	v_add_f64_e32 v[156:157], v[128:129], v[10:11]
	v_mul_f64_e32 v[216:217], s[18:19], v[126:127]
	v_mul_f64_e32 v[220:221], s[26:27], v[126:127]
	;; [unrolled: 1-line block ×4, first 2 shown]
	s_wait_dscnt 0x1
	v_mul_f64_e32 v[236:237], v[175:176], v[74:75]
	v_fma_f64 v[86:87], v[92:93], v[88:89], -v[90:91]
	v_fma_f64 v[88:89], v[34:35], v[84:85], v[194:195]
	v_fma_f64 v[90:91], v[98:99], v[76:77], -v[224:225]
	v_mul_f64_e32 v[224:225], v[24:25], v[62:63]
	v_mul_f64_e32 v[14:15], s[12:13], v[126:127]
	v_mul_f64_e32 v[218:219], s[22:23], v[126:127]
	v_mul_f64_e32 v[222:223], s[30:31], v[126:127]
	s_wait_dscnt 0x0
	v_mul_f64_e32 v[240:241], v[190:191], v[74:75]
	v_fma_f64 v[78:79], v[164:165], v[76:77], -v[228:229]
	v_fma_f64 v[74:75], v[175:176], v[72:73], -v[238:239]
	;; [unrolled: 1-line block ×3, first 2 shown]
	v_mul_f64_e32 v[232:233], v[160:161], v[66:67]
	v_mul_f64_e32 v[234:235], v[173:174], v[66:67]
	;; [unrolled: 1-line block ×3, first 2 shown]
	v_fma_f64 v[70:71], v[192:193], v[36:37], -v[210:211]
	v_mul_f64_e32 v[98:99], v[20:21], v[66:67]
	scratch_store_b64 off, v[10:11], off offset:116 ; 8-byte Folded Spill
	v_mul_f64_e32 v[126:127], s[6:7], v[126:127]
	v_mul_f64_e32 v[196:197], s[30:31], v[214:215]
	;; [unrolled: 1-line block ×3, first 2 shown]
	v_fma_f64 v[94:95], v[120:121], v[80:81], v[200:201]
	v_mul_f64_e32 v[200:201], s[44:45], v[214:215]
	scratch_store_b64 off, v[16:17], off offset:108 ; 8-byte Folded Spill
	v_add_f64_e64 v[120:121], v[130:131], -v[16:17]
	v_dual_mov_b32 v16, v82 :: v_dual_mov_b32 v17, v83
	v_or_b32_e32 v6, v6, v148
	v_fma_f64 v[132:133], v[118:119], v[84:85], v[198:199]
	v_fma_f64 v[118:119], v[138:139], v[80:81], -v[202:203]
	v_fma_f64 v[84:85], v[28:29], v[80:81], v[204:205]
	v_fma_f64 v[92:93], v[144:145], v[52:53], v[212:213]
	v_lshl_add_u32 v140, v6, 3, 0
	v_fma_f64 v[28:29], v[96:97], v[80:81], -v[206:207]
	v_add_f64_e32 v[138:139], v[134:135], v[82:83]
	v_mul_f64_e32 v[204:205], s[36:37], v[214:215]
	v_fma_f64 v[206:207], v[156:157], s[28:29], v[220:221]
	v_fma_f64 v[6:7], v[24:25], v[60:61], v[230:231]
	v_fma_f64 v[24:25], v[156:157], s[20:21], -v[216:217]
	v_fma_f64 v[147:148], v[30:31], v[76:77], v[208:209]
	v_fma_f64 v[80:81], v[116:117], v[76:77], v[226:227]
	;; [unrolled: 1-line block ×3, first 2 shown]
	v_fma_f64 v[149:150], v[158:159], v[60:61], -v[224:225]
	v_fma_f64 v[194:195], v[156:157], s[14:15], v[14:15]
	v_fma_f64 v[198:199], v[156:157], s[20:21], v[216:217]
	;; [unrolled: 1-line block ×3, first 2 shown]
	v_mul_f64_e32 v[208:209], s[40:41], v[214:215]
	v_fma_f64 v[210:211], v[156:157], s[34:35], v[222:223]
	v_fma_f64 v[222:223], v[156:157], s[34:35], -v[222:223]
	v_fma_f64 v[218:219], v[156:157], s[24:25], -v[218:219]
	v_mul_f64_e32 v[116:117], v[26:27], v[66:67]
	v_fma_f64 v[164:165], v[156:157], s[28:29], -v[220:221]
	v_fma_f64 v[226:227], v[156:157], s[14:15], -v[14:15]
	v_mul_f64_e32 v[212:213], v[169:170], v[62:63]
	v_mul_f64_e32 v[220:221], v[68:69], v[54:55]
	v_fma_f64 v[96:97], v[26:27], v[64:65], v[232:233]
	v_fma_f64 v[151:152], v[180:181], v[72:73], v[240:241]
	;; [unrolled: 1-line block ×3, first 2 shown]
	v_fma_f64 v[66:67], v[173:174], v[64:65], -v[98:99]
	v_mul_f64_e32 v[98:99], v[8:9], v[54:55]
	v_mul_f64_e32 v[173:174], v[56:57], v[46:47]
	v_fma_f64 v[54:55], v[169:170], v[60:61], -v[244:245]
	v_mul_f64_e32 v[190:191], s[42:43], v[120:121]
	v_mul_f64_e32 v[26:27], s[30:31], v[120:121]
	;; [unrolled: 1-line block ×5, first 2 shown]
	v_add_f64_e64 v[177:178], v[118:119], -v[70:71]
	v_add_f64_e64 v[169:170], v[78:79], -v[74:75]
	v_add_f64_e32 v[175:176], v[132:133], v[92:93]
	s_clause 0x1
	scratch_store_b64 off, v[92:93], off offset:132
	scratch_store_b64 off, v[70:71], off offset:124
	v_fma_f64 v[158:159], v[138:139], s[34:35], -v[196:197]
	v_fma_f64 v[236:237], v[138:139], s[20:21], v[204:205]
	v_add_f64_e32 v[206:207], v[0:1], v[206:207]
	v_fma_f64 v[230:231], v[138:139], s[24:25], v[192:193]
	v_add_f64_e32 v[24:25], v[0:1], v[24:25]
	v_fma_f64 v[232:233], v[138:139], s[34:35], v[196:197]
	v_mul_f64_e32 v[196:197], v[110:111], v[50:51]
	v_mul_f64_e32 v[120:121], s[18:19], v[120:121]
	s_clause 0x3
	scratch_store_b64 off, v[104:105], off offset:180
	scratch_store_b64 off, v[86:87], off offset:172
	;; [unrolled: 1-line block ×4, first 2 shown]
	v_add_f64_e32 v[194:195], v[0:1], v[194:195]
	v_add_f64_e32 v[198:199], v[0:1], v[198:199]
	;; [unrolled: 1-line block ×3, first 2 shown]
	s_wait_alu 0xfffe
	v_fma_f64 v[238:239], v[138:139], s[8:9], v[208:209]
	v_add_f64_e32 v[210:211], v[0:1], v[210:211]
	v_fma_f64 v[208:209], v[138:139], s[8:9], -v[208:209]
	v_add_f64_e32 v[222:223], v[0:1], v[222:223]
	v_add_f64_e32 v[218:219], v[0:1], v[218:219]
	v_fma_f64 v[62:63], v[160:161], v[64:65], -v[116:117]
	v_fma_f64 v[116:117], v[138:139], s[20:21], -v[204:205]
	v_add_f64_e32 v[160:161], v[0:1], v[164:165]
	v_fma_f64 v[164:165], v[138:139], s[24:25], -v[192:193]
	v_add_f64_e32 v[192:193], v[0:1], v[226:227]
	v_mul_f64_e32 v[204:205], v[4:5], v[46:47]
	v_mul_f64_e32 v[46:47], v[124:125], v[50:51]
	v_fma_f64 v[114:115], v[8:9], v[52:53], v[220:221]
	v_fma_f64 v[14:15], v[68:69], v[52:53], -v[98:99]
	v_fma_f64 v[92:93], v[4:5], v[44:45], v[173:174]
	v_add_f64_e32 v[4:5], v[0:1], v[128:129]
	v_add_f64_e64 v[128:129], v[128:129], -v[10:11]
	s_clause 0x3
	scratch_store_b64 off, v[88:89], off offset:188
	scratch_store_b64 off, v[34:35], off offset:276
	;; [unrolled: 1-line block ×4, first 2 shown]
	v_mul_f64_e32 v[220:221], s[40:41], v[177:178]
	v_mul_f64_e32 v[226:227], s[18:19], v[177:178]
	v_fma_f64 v[242:243], v[175:176], s[34:35], -v[26:27]
	v_mul_f64_e32 v[68:69], s[46:47], v[169:170]
	v_add_f64_e32 v[206:207], v[236:237], v[206:207]
	v_fma_f64 v[236:237], v[175:176], s[24:25], v[190:191]
	v_fma_f64 v[190:191], v[175:176], s[24:25], -v[190:191]
	v_add_f64_e32 v[158:159], v[158:159], v[24:25]
	v_fma_f64 v[8:9], v[124:125], v[48:49], -v[196:197]
	scratch_store_b64 off, v[90:91], off offset:364 ; 8-byte Folded Spill
	v_mul_f64_e32 v[52:53], s[36:37], v[169:170]
	v_mul_f64_e32 v[98:99], s[40:41], v[169:170]
	;; [unrolled: 1-line block ×3, first 2 shown]
	v_add_f64_e32 v[194:195], v[230:231], v[194:195]
	v_mul_f64_e32 v[230:231], s[46:47], v[177:178]
	v_add_f64_e32 v[198:199], v[232:233], v[198:199]
	v_mul_f64_e32 v[232:233], s[38:39], v[177:178]
	v_add_f64_e32 v[210:211], v[238:239], v[210:211]
	v_fma_f64 v[238:239], v[175:176], s[8:9], v[216:217]
	v_add_f64_e32 v[208:209], v[208:209], v[222:223]
	v_fma_f64 v[222:223], v[175:176], s[14:15], v[228:229]
	v_fma_f64 v[216:217], v[175:176], s[8:9], -v[216:217]
	v_fma_f64 v[228:229], v[175:176], s[14:15], -v[228:229]
	v_add_f64_e32 v[116:117], v[116:117], v[160:161]
	v_mul_f64_e32 v[160:161], v[154:155], v[38:39]
	v_add_f64_e32 v[164:165], v[164:165], v[192:193]
	v_mul_f64_e32 v[192:193], v[142:143], v[38:39]
	v_fma_f64 v[22:23], v[110:111], v[48:49], v[46:47]
	v_add_f64_e64 v[48:49], v[54:55], -v[62:63]
	v_add_f64_e32 v[158:159], v[190:191], v[158:159]
	v_mov_b32_e32 v191, v148
	ds_load_2addr_b64 v[100:103], v12 offset1:156
	v_fma_f64 v[12:13], v[20:21], v[64:65], v[234:235]
	v_fma_f64 v[234:235], v[138:139], s[28:29], v[200:201]
	v_fma_f64 v[200:201], v[138:139], s[28:29], -v[200:201]
	v_fma_f64 v[64:65], v[112:113], v[60:61], v[212:213]
	v_mul_f64_e32 v[112:113], v[2:3], v[42:43]
	v_add_f64_e32 v[60:61], v[94:95], v[72:73]
	v_mul_f64_e32 v[212:213], s[44:45], v[177:178]
	v_add_f64_e32 v[173:174], v[236:237], v[198:199]
	global_wb scope:SCOPE_SE
	s_wait_storecnt_dscnt 0x0
	s_barrier_signal -1
	s_barrier_wait -1
	global_inv scope:SCOPE_SE
	v_mul_f64_e32 v[177:178], s[22:23], v[177:178]
	v_mov_b32_e32 v190, v147
	v_add_f64_e32 v[116:117], v[228:229], v[116:117]
	v_fma_f64 v[82:83], v[142:143], v[36:37], v[160:161]
	v_add_f64_e32 v[160:161], v[122:123], v[162:163]
	v_fma_f64 v[20:21], v[154:155], v[36:37], -v[192:193]
	v_add_f64_e32 v[154:155], v[242:243], v[164:165]
	v_mul_f64_e32 v[224:225], v[102:103], v[42:43]
	v_mul_f64_e32 v[236:237], s[22:23], v[48:49]
	v_add_f64_e32 v[228:229], v[88:89], v[114:115]
	v_add_f64_e32 v[122:123], v[100:101], v[122:123]
	v_mov_b32_e32 v39, v13
	v_add_f64_e32 v[202:203], v[234:235], v[202:203]
	v_fma_f64 v[234:235], v[175:176], s[34:35], v[26:27]
	v_add_f64_e32 v[200:201], v[200:201], v[218:219]
	v_fma_f64 v[218:219], v[175:176], s[28:29], v[240:241]
	v_fma_f64 v[240:241], v[175:176], s[28:29], -v[240:241]
	v_fma_f64 v[70:71], v[102:103], v[40:41], -v[112:113]
	v_mul_f64_e32 v[102:103], s[22:23], v[169:170]
	v_fma_f64 v[110:111], v[60:61], s[28:29], v[212:213]
	v_fma_f64 v[124:125], v[60:61], s[8:9], v[220:221]
	;; [unrolled: 1-line block ×3, first 2 shown]
	v_fma_f64 v[36:37], v[60:61], s[28:29], -v[212:213]
	v_fma_f64 v[164:165], v[60:61], s[8:9], -v[220:221]
	v_add_f64_e32 v[192:193], v[64:65], v[96:97]
	v_fma_f64 v[88:89], v[60:61], s[24:25], v[177:178]
	v_fma_f64 v[94:95], v[60:61], s[24:25], -v[177:178]
	v_add_f64_e32 v[182:183], v[84:85], v[82:83]
	v_fma_f64 v[40:41], v[2:3], v[40:41], v[224:225]
	v_fma_f64 v[2:3], v[56:57], v[44:45], -v[204:205]
	v_add_f64_e32 v[44:45], v[80:81], v[76:77]
	v_mul_f64_e32 v[56:57], s[12:13], v[169:170]
	v_fma_f64 v[204:205], v[60:61], s[14:15], v[232:233]
	scratch_store_b64 off, v[14:15], off offset:140 ; 8-byte Folded Spill
	v_mul_f64_e32 v[169:170], s[26:27], v[169:170]
	v_add_f64_e32 v[224:225], v[104:105], v[92:93]
	v_add_f64_e32 v[196:197], v[238:239], v[202:203]
	;; [unrolled: 1-line block ×3, first 2 shown]
	v_fma_f64 v[194:195], v[60:61], s[20:21], v[226:227]
	v_add_f64_e32 v[202:203], v[222:223], v[206:207]
	v_add_f64_e32 v[206:207], v[218:219], v[210:211]
	v_fma_f64 v[210:211], v[60:61], s[14:15], -v[232:233]
	v_add_f64_e32 v[208:209], v[240:241], v[208:209]
	v_mul_f64_e32 v[234:235], s[38:39], v[48:49]
	v_add_f64_e32 v[124:125], v[124:125], v[173:174]
	v_add_f64_e32 v[200:201], v[216:217], v[200:201]
	;; [unrolled: 1-line block ×4, first 2 shown]
	v_fma_f64 v[216:217], v[60:61], s[34:35], -v[230:231]
	v_mul_f64_e32 v[230:231], s[40:41], v[48:49]
	v_mul_f64_e32 v[232:233], s[26:27], v[48:49]
	;; [unrolled: 1-line block ×4, first 2 shown]
	v_fma_f64 v[218:219], v[60:61], s[20:21], -v[226:227]
	v_mul_f64_e32 v[158:159], s[20:21], v[160:161]
	v_add_f64_e64 v[222:223], v[86:87], -v[2:3]
	v_fma_f64 v[173:174], v[44:45], s[34:35], v[68:69]
	v_fma_f64 v[240:241], v[44:45], s[20:21], v[52:53]
	v_fma_f64 v[52:53], v[44:45], s[20:21], -v[52:53]
	v_fma_f64 v[68:69], v[44:45], s[34:35], -v[68:69]
	v_mul_f64_e32 v[164:165], s[24:25], v[160:161]
	v_add_f64_e64 v[212:213], v[70:71], -v[8:9]
	v_add_f64_e64 v[226:227], v[32:33], -v[14:15]
	v_add_f64_e32 v[220:221], v[40:41], v[22:23]
	v_add_f64_e32 v[110:111], v[110:111], v[112:113]
	v_fma_f64 v[112:113], v[44:45], s[14:15], v[56:57]
	v_add_f64_e32 v[194:195], v[194:195], v[196:197]
	v_add_f64_e32 v[198:199], v[198:199], v[202:203]
	v_fma_f64 v[202:203], v[44:45], s[24:25], v[102:103]
	v_add_f64_e32 v[204:205], v[204:205], v[206:207]
	v_fma_f64 v[102:103], v[44:45], s[24:25], -v[102:103]
	v_add_f64_e32 v[206:207], v[210:211], v[208:209]
	v_mul_f64_e32 v[208:209], s[8:9], v[160:161]
	v_fma_f64 v[56:57], v[44:45], s[14:15], -v[56:57]
	v_mul_f64_e32 v[210:211], s[14:15], v[160:161]
	v_fma_f64 v[196:197], v[44:45], s[8:9], v[98:99]
	v_fma_f64 v[98:99], v[44:45], s[8:9], -v[98:99]
	v_add_f64_e32 v[116:117], v[216:217], v[116:117]
	v_mul_f64_e32 v[216:217], s[28:29], v[160:161]
	v_mul_f64_e32 v[160:161], s[34:35], v[160:161]
	v_add_f64_e32 v[200:201], v[218:219], v[200:201]
	v_fma_f64 v[252:253], v[192:193], s[8:9], v[230:231]
	v_fma_f64 v[230:231], v[192:193], s[8:9], -v[230:231]
	v_mul_f64_e32 v[242:243], s[12:13], v[222:223]
	v_mul_f64_e32 v[248:249], s[22:23], v[222:223]
	v_add_f64_e32 v[36:37], v[52:53], v[36:37]
	v_fma_f64 v[52:53], v[192:193], s[28:29], -v[232:233]
	v_mul_f64_e32 v[218:219], s[6:7], v[212:213]
	v_mul_f64_e32 v[244:245], s[18:19], v[226:227]
	;; [unrolled: 1-line block ×4, first 2 shown]
	v_add_f64_e32 v[110:111], v[240:241], v[110:111]
	v_add_f64_e32 v[112:113], v[112:113], v[124:125]
	v_fma_f64 v[124:125], v[192:193], s[14:15], v[234:235]
	v_add_f64_e32 v[173:174], v[173:174], v[194:195]
	v_fma_f64 v[194:195], v[192:193], s[24:25], v[236:237]
	v_fma_f64 v[240:241], v[192:193], s[28:29], v[232:233]
	;; [unrolled: 1-line block ×3, first 2 shown]
	v_add_f64_e32 v[102:103], v[102:103], v[206:207]
	v_fma_f64 v[206:207], v[192:193], s[14:15], -v[234:235]
	v_fma_f64 v[234:235], v[192:193], s[24:25], -v[236:237]
	v_fma_f64 v[236:237], v[156:157], s[8:9], v[126:127]
	v_fma_f64 v[126:127], v[156:157], s[8:9], -v[126:127]
	v_add_f64_e32 v[56:57], v[56:57], v[154:155]
	v_fma_f64 v[154:155], v[128:129], s[6:7], v[208:209]
	v_fma_f64 v[156:157], v[128:129], s[40:41], v[208:209]
	;; [unrolled: 1-line block ×5, first 2 shown]
	v_add_f64_e32 v[196:197], v[196:197], v[198:199]
	v_fma_f64 v[198:199], v[192:193], s[20:21], v[238:239]
	v_add_f64_e32 v[202:203], v[202:203], v[204:205]
	v_fma_f64 v[204:205], v[192:193], s[20:21], -v[238:239]
	v_add_f64_e32 v[200:201], v[68:69], v[200:201]
	v_add_f64_e32 v[116:117], v[98:99], v[116:117]
	v_fma_f64 v[238:239], v[128:129], s[42:43], v[164:165]
	v_fma_f64 v[164:165], v[128:129], s[22:23], v[164:165]
	;; [unrolled: 1-line block ×7, first 2 shown]
	v_fma_f64 v[138:139], v[138:139], s[14:15], -v[214:215]
	v_mul_f64_e32 v[214:215], s[30:31], v[226:227]
	v_add_f64_e32 v[230:231], v[230:231], v[36:37]
	v_fma_f64 v[68:69], v[228:229], s[20:21], v[244:245]
	v_fma_f64 v[50:51], v[220:221], s[14:15], v[246:247]
	v_add_f64_e32 v[124:125], v[124:125], v[173:174]
	v_mul_f64_e32 v[173:174], s[22:23], v[212:213]
	v_add_f64_e32 v[112:113], v[240:241], v[112:113]
	v_mul_f64_e32 v[240:241], s[42:43], v[226:227]
	v_add_f64_e32 v[236:237], v[0:1], v[236:237]
	v_add_f64_e32 v[126:127], v[0:1], v[126:127]
	;; [unrolled: 1-line block ×4, first 2 shown]
	scratch_store_b64 off, v[2:3], off offset:148 ; 8-byte Folded Spill
	v_fma_f64 v[2:3], v[175:176], s[20:21], v[120:121]
	v_add_f64_e32 v[156:157], v[100:101], v[156:157]
	v_add_f64_e32 v[154:155], v[100:101], v[208:209]
	;; [unrolled: 1-line block ×3, first 2 shown]
	v_mul_f64_e32 v[196:197], s[44:45], v[222:223]
	v_add_f64_e32 v[198:199], v[198:199], v[202:203]
	v_mul_f64_e32 v[202:203], s[26:27], v[212:213]
	v_add_f64_e32 v[204:205], v[204:205], v[102:103]
	v_add_f64_e32 v[200:201], v[206:207], v[200:201]
	v_mul_f64_e32 v[206:207], s[40:41], v[226:227]
	v_add_f64_e32 v[116:117], v[234:235], v[116:117]
	v_mul_f64_e32 v[234:235], s[12:13], v[226:227]
	v_mul_f64_e32 v[212:213], s[30:31], v[212:213]
	v_mul_f64_e32 v[226:227], s[26:27], v[226:227]
	v_add_f64_e32 v[52:53], v[100:101], v[232:233]
	v_add_f64_e32 v[162:163], v[100:101], v[162:163]
	v_fma_f64 v[232:233], v[220:221], s[20:21], -v[250:251]
	v_dual_mov_b32 v103, v29 :: v_dual_mov_b32 v102, v28
	v_add_f64_e32 v[50:51], v[18:19], v[50:51]
	v_add_f64_e32 v[126:127], v[138:139], v[126:127]
	ds_store_2addr_b64 v140, v[171:172], v[230:231] offset0:20 offset1:22
	v_fma_f64 v[230:231], v[220:221], s[14:15], -v[246:247]
	v_fma_f64 v[246:247], v[224:225], s[24:25], -v[248:249]
	scratch_store_b64 off, v[2:3], off offset:300 ; 8-byte Folded Spill
	v_fma_f64 v[2:3], v[175:176], s[20:21], -v[120:121]
	v_mul_f64_e32 v[120:121], s[30:31], v[222:223]
	v_add_f64_e32 v[175:176], v[252:253], v[110:111]
	v_mul_f64_e32 v[252:253], s[36:37], v[222:223]
	v_mul_f64_e32 v[222:223], s[40:41], v[222:223]
	v_fma_f64 v[110:111], v[44:45], s[28:29], -v[169:170]
	ds_store_2addr_b64 v140, v[124:125], v[194:195] offset0:8 offset1:10
	v_fma_f64 v[124:125], v[228:229], s[24:25], v[240:241]
	v_fma_f64 v[194:195], v[220:221], s[24:25], v[173:174]
	ds_store_2addr_b64 v140, v[198:199], v[204:205] offset0:12 offset1:14
	v_fma_f64 v[198:199], v[224:225], s[28:29], v[196:197]
	v_fma_f64 v[204:205], v[220:221], s[28:29], v[202:203]
	ds_store_2addr_b64 v140, v[116:117], v[200:201] offset0:16 offset1:18
	v_fma_f64 v[60:61], v[228:229], s[8:9], v[206:207]
	v_fma_f64 v[171:172], v[228:229], s[14:15], v[234:235]
	v_fma_f64 v[173:174], v[220:221], s[24:25], -v[173:174]
	v_fma_f64 v[202:203], v[220:221], s[28:29], -v[202:203]
	v_fma_f64 v[196:197], v[224:225], s[28:29], -v[196:197]
	v_fma_f64 v[206:207], v[228:229], s[8:9], -v[206:207]
	v_fma_f64 v[234:235], v[228:229], s[14:15], -v[234:235]
	v_fma_f64 v[240:241], v[228:229], s[24:25], -v[240:241]
	scratch_store_b64 off, v[0:1], off offset:204 ; 8-byte Folded Spill
	v_add_f64_e32 v[0:1], v[100:101], v[210:211]
	v_fma_f64 v[210:211], v[220:221], s[20:21], v[250:251]
	scratch_store_b64 off, v[2:3], off offset:308 ; 8-byte Folded Spill
	v_fma_f64 v[2:3], v[44:45], s[28:29], v[169:170]
	v_fma_f64 v[169:170], v[220:221], s[8:9], v[218:219]
	ds_store_2addr_b64 v140, v[175:176], v[112:113] offset0:4 offset1:6
	v_fma_f64 v[112:113], v[224:225], s[34:35], v[120:121]
	v_fma_f64 v[175:176], v[228:229], s[34:35], v[214:215]
	;; [unrolled: 1-line block ×3, first 2 shown]
	v_fma_f64 v[218:219], v[220:221], s[8:9], -v[218:219]
	v_fma_f64 v[120:121], v[224:225], s[34:35], -v[120:121]
	;; [unrolled: 1-line block ×3, first 2 shown]
	v_dual_mov_b32 v44, v151 :: v_dual_mov_b32 v45, v152
	v_add_f64_e32 v[173:174], v[18:19], v[173:174]
	s_delay_alu instid0(VALU_DEP_2)
	v_add_f64_e32 v[141:142], v[190:191], v[44:45]
	scratch_store_b64 off, v[0:1], off offset:212 ; 8-byte Folded Spill
	v_add_f64_e32 v[0:1], v[100:101], v[158:159]
	scratch_store_b64 off, v[8:9], off offset:260 ; 8-byte Folded Spill
	v_add_f64_e32 v[158:159], v[100:101], v[238:239]
	v_fma_f64 v[238:239], v[224:225], s[20:21], -v[252:253]
	scratch_store_b64 off, v[2:3], off offset:316 ; 8-byte Folded Spill
	v_fma_f64 v[2:3], v[192:193], s[34:35], v[48:49]
	v_add_f64_e32 v[138:139], v[18:19], v[169:170]
	v_add_f64_e32 v[173:174], v[196:197], v[173:174]
	;; [unrolled: 1-line block ×3, first 2 shown]
	scratch_store_b64 off, v[0:1], off offset:220 ; 8-byte Folded Spill
	v_add_f64_e32 v[0:1], v[100:101], v[164:165]
	scratch_store_b64 off, v[22:23], off offset:268 ; 8-byte Folded Spill
	v_add_f64_e32 v[164:165], v[100:101], v[254:255]
	scratch_store_b64 off, v[2:3], off offset:244 ; 8-byte Folded Spill
	v_fma_f64 v[2:3], v[192:193], s[34:35], -v[48:49]
	v_fma_f64 v[192:193], v[224:225], s[14:15], v[242:243]
	v_add_f64_e32 v[120:121], v[120:121], v[196:197]
	v_add_f64_e32 v[196:197], v[18:19], v[218:219]
	scratch_store_b64 off, v[0:1], off offset:228 ; 8-byte Folded Spill
	v_add_f64_e32 v[0:1], v[100:101], v[216:217]
	v_add_f64_e32 v[100:101], v[100:101], v[128:129]
	v_fma_f64 v[128:129], v[224:225], s[24:25], v[248:249]
	v_fma_f64 v[216:217], v[220:221], s[34:35], v[212:213]
	v_fma_f64 v[212:213], v[220:221], s[34:35], -v[212:213]
	v_fma_f64 v[220:221], v[224:225], s[8:9], v[222:223]
	v_fma_f64 v[222:223], v[224:225], s[8:9], -v[222:223]
	v_fma_f64 v[224:225], v[224:225], s[14:15], -v[242:243]
	v_fma_f64 v[242:243], v[228:229], s[28:29], v[226:227]
	v_fma_f64 v[226:227], v[228:229], s[28:29], -v[226:227]
	v_fma_f64 v[228:229], v[228:229], s[20:21], -v[244:245]
	v_add_f64_e64 v[244:245], v[28:29], -v[20:21]
	s_clause 0x1
	scratch_store_b64 off, v[20:21], off offset:284
	scratch_store_b64 off, v[2:3], off offset:252
	v_add_f64_e32 v[138:139], v[192:193], v[138:139]
	v_add_f64_e32 v[192:193], v[18:19], v[202:203]
	;; [unrolled: 1-line block ×3, first 2 shown]
	scratch_store_b64 off, v[0:1], off offset:236 ; 8-byte Folded Spill
	v_add_f64_e32 v[50:51], v[128:129], v[50:51]
	v_add_f64_e32 v[128:129], v[18:19], v[210:211]
	;; [unrolled: 1-line block ×4, first 2 shown]
	v_mul_f64_e32 v[248:249], s[22:23], v[244:245]
	v_mul_f64_e32 v[250:251], s[44:45], v[244:245]
	;; [unrolled: 1-line block ×6, first 2 shown]
	v_add_f64_e32 v[192:193], v[238:239], v[192:193]
	scratch_load_b64 v[238:239], off, off offset:268 th:TH_LOAD_LU ; 8-byte Folded Reload
	v_add_f64_e32 v[50:51], v[175:176], v[50:51]
	v_add_f64_e32 v[112:113], v[112:113], v[128:129]
	;; [unrolled: 1-line block ×5, first 2 shown]
	v_fma_f64 v[20:21], v[182:183], s[24:25], v[248:249]
	v_fma_f64 v[24:25], v[182:183], s[28:29], v[250:251]
	v_fma_f64 v[250:251], v[182:183], s[28:29], -v[250:251]
	v_fma_f64 v[28:29], v[182:183], s[20:21], v[254:255]
	v_fma_f64 v[254:255], v[182:183], s[20:21], -v[254:255]
	;; [unrolled: 2-line block ×5, first 2 shown]
	v_fma_f64 v[182:183], v[182:183], s[24:25], -v[248:249]
	v_add_f64_e64 v[248:249], v[90:91], -v[34:35]
	v_dual_mov_b32 v167, v7 :: v_dual_mov_b32 v166, v6
	v_mov_b32_e32 v38, v12
	s_delay_alu instid0(VALU_DEP_1)
	v_add_f64_e32 v[147:148], v[166:167], v[38:39]
	v_add_f64_e32 v[112:113], v[124:125], v[112:113]
	;; [unrolled: 1-line block ×6, first 2 shown]
	v_mul_f64_e32 v[0:1], s[26:27], v[248:249]
	v_mul_f64_e32 v[104:105], s[36:37], v[248:249]
	;; [unrolled: 1-line block ×6, first 2 shown]
	v_add_f64_e32 v[22:23], v[22:23], v[112:113]
	v_add_f64_e32 v[124:125], v[60:61], v[128:129]
	scratch_load_b64 v[60:61], off, off offset:108 th:TH_LOAD_LU ; 8-byte Folded Reload
	v_fma_f64 v[34:35], v[141:142], s[28:29], v[0:1]
	v_fma_f64 v[42:43], v[141:142], s[20:21], v[104:105]
	v_fma_f64 v[104:105], v[141:142], s[20:21], -v[104:105]
	v_fma_f64 v[48:49], v[141:142], s[34:35], v[184:185]
	v_fma_f64 v[184:185], v[141:142], s[34:35], -v[184:185]
	;; [unrolled: 2-line block ×5, first 2 shown]
	v_fma_f64 v[177:178], v[141:142], s[28:29], -v[0:1]
	v_add_f64_e64 v[141:142], v[149:150], -v[66:67]
	v_dual_mov_b32 v67, v17 :: v_dual_mov_b32 v66, v16
	v_add_f64_e32 v[28:29], v[28:29], v[124:125]
	v_add_f64_e32 v[124:125], v[54:55], v[62:63]
	v_add_f64_e32 v[24:25], v[42:43], v[24:25]
	scratch_load_b64 v[42:43], off, off offset:188 th:TH_LOAD_LU ; 8-byte Folded Reload
	v_add_f64_e32 v[22:23], v[36:37], v[22:23]
	v_mul_f64_e32 v[0:1], s[30:31], v[141:142]
	v_mul_f64_e32 v[145:146], s[40:41], v[141:142]
	;; [unrolled: 1-line block ×6, first 2 shown]
	v_add_f64_e32 v[28:29], v[48:49], v[28:29]
	v_fma_f64 v[86:87], v[147:148], s[34:35], v[0:1]
	v_fma_f64 v[0:1], v[147:148], s[34:35], -v[0:1]
	v_fma_f64 v[90:91], v[147:148], s[8:9], v[145:146]
	v_fma_f64 v[98:99], v[147:148], s[28:29], v[152:153]
	;; [unrolled: 1-line block ×4, first 2 shown]
	v_fma_f64 v[180:181], v[147:148], s[24:25], -v[180:181]
	v_fma_f64 v[151:152], v[147:148], s[28:29], -v[152:153]
	scratch_store_b64 off, v[0:1], off offset:324 ; 8-byte Folded Spill
	scratch_load_b64 v[0:1], off, off offset:196 th:TH_LOAD_LU ; 8-byte Folded Reload
	v_add_f64_e32 v[24:25], v[90:91], v[24:25]
	v_add_f64_e32 v[22:23], v[98:99], v[22:23]
	scratch_store_b64 off, v[2:3], off offset:356 ; 8-byte Folded Spill
	v_fma_f64 v[2:3], v[147:148], s[20:21], -v[141:142]
	v_fma_f64 v[141:142], v[147:148], s[14:15], v[186:187]
	v_fma_f64 v[186:187], v[147:148], s[14:15], -v[186:187]
	scratch_store_b64 off, v[2:3], off offset:348 ; 8-byte Folded Spill
	v_fma_f64 v[2:3], v[147:148], s[8:9], -v[145:146]
	v_dual_mov_b32 v146, v59 :: v_dual_mov_b32 v145, v58
	v_add_f64_e32 v[28:29], v[141:142], v[28:29]
	scratch_store_b64 off, v[2:3], off offset:340 ; 8-byte Folded Spill
	s_wait_loadcnt 0x0
	v_add_f64_e32 v[147:148], v[0:1], v[58:59]
	v_add_f64_e32 v[122:123], v[122:123], v[0:1]
	;; [unrolled: 1-line block ×3, first 2 shown]
	v_add_f64_e64 v[134:135], v[134:135], -v[66:67]
	s_delay_alu instid0(VALU_DEP_4)
	v_mul_f64_e32 v[0:1], s[8:9], v[147:148]
	v_mul_f64_e32 v[2:3], s[28:29], v[147:148]
	;; [unrolled: 1-line block ×6, first 2 shown]
	v_add_f64_e32 v[122:123], v[122:123], v[130:131]
	v_fma_f64 v[16:17], v[134:135], s[6:7], v[0:1]
	v_fma_f64 v[14:15], v[134:135], s[40:41], v[0:1]
	;; [unrolled: 1-line block ×12, first 2 shown]
	v_add_f64_e32 v[147:148], v[160:161], v[236:237]
	scratch_load_b64 v[236:237], off, off offset:260 th:TH_LOAD_LU ; 8-byte Folded Reload
	v_add_f64_e32 v[160:161], v[18:19], v[204:205]
	v_add_f64_e32 v[122:123], v[122:123], v[118:119]
	;; [unrolled: 1-line block ×7, first 2 shown]
	scratch_load_b64 v[52:53], off, off offset:300 th:TH_LOAD_LU ; 8-byte Folded Reload
	v_add_f64_e32 v[4:5], v[4:5], v[156:157]
	v_add_f64_e32 v[157:158], v[228:229], v[196:197]
	;; [unrolled: 1-line block ×4, first 2 shown]
	scratch_load_b64 v[214:215], off, off offset:332 th:TH_LOAD_LU ; 8-byte Folded Reload
	v_add_f64_e32 v[153:154], v[234:235], v[192:193]
	scratch_load_b64 v[228:229], off, off offset:140 th:TH_LOAD_LU ; 8-byte Folded Reload
	v_add_f64_e32 v[116:117], v[116:117], v[160:161]
	v_add_f64_e32 v[160:161], v[18:19], v[216:217]
	;; [unrolled: 1-line block ×4, first 2 shown]
	v_add_f64_e64 v[40:41], v[40:41], -v[238:239]
	v_add_f64_e32 v[78:79], v[78:79], v[74:75]
	v_dual_mov_b32 v235, v83 :: v_dual_mov_b32 v234, v82
	v_add_f64_e32 v[112:113], v[32:33], v[153:154]
	scratch_load_b64 v[32:33], off, off offset:316 th:TH_LOAD_LU ; 8-byte Folded Reload
	v_add_f64_e32 v[116:117], v[171:172], v[116:117]
	v_add_f64_e32 v[160:161], v[220:221], v[160:161]
	;; [unrolled: 1-line block ×3, first 2 shown]
	v_mul_f64_e32 v[48:49], s[28:29], v[78:79]
	v_mul_f64_e32 v[141:142], s[8:9], v[78:79]
	v_add_f64_e32 v[26:27], v[26:27], v[116:117]
	v_add_f64_e32 v[128:129], v[242:243], v[160:161]
	;; [unrolled: 1-line block ×3, first 2 shown]
	scratch_load_b64 v[58:59], off, off offset:132 th:TH_LOAD_LU ; 8-byte Folded Reload
	v_add_f64_e32 v[54:55], v[122:123], v[62:63]
	v_add_f64_e32 v[116:117], v[250:251], v[155:156]
	;; [unrolled: 1-line block ×3, first 2 shown]
	v_mov_b32_e32 v251, v179
	v_add_f64_e32 v[26:27], v[46:47], v[26:27]
	v_add_f64_e32 v[30:31], v[30:31], v[128:129]
	scratch_load_b64 v[46:47], off, off offset:180 th:TH_LOAD_LU ; 8-byte Folded Reload
	v_add_f64_e32 v[54:55], v[54:55], v[74:75]
	v_add_f64_e32 v[62:63], v[177:178], v[62:63]
	v_add_f64_e32 v[30:31], v[56:57], v[30:31]
	scratch_load_b64 v[56:57], off, off offset:164 th:TH_LOAD_LU ; 8-byte Folded Reload
	s_wait_loadcnt 0x7
	v_add_f64_e32 v[198:199], v[70:71], v[236:237]
	s_wait_loadcnt 0x6
	v_add_f64_e32 v[100:101], v[52:53], v[147:148]
	scratch_load_b64 v[52:53], off, off offset:308 th:TH_LOAD_LU ; 8-byte Folded Reload
	v_add_f64_e32 v[147:148], v[206:207], v[173:174]
	scratch_load_b64 v[206:207], off, off offset:364 th:TH_LOAD_LU ; 8-byte Folded Reload
	v_mul_f64_e32 v[204:205], s[14:15], v[198:199]
	v_mul_f64_e32 v[202:203], s[8:9], v[198:199]
	;; [unrolled: 1-line block ×6, first 2 shown]
	v_add_f64_e32 v[88:89], v[88:89], v[100:101]
	v_fma_f64 v[220:221], v[40:41], s[38:39], v[204:205]
	v_fma_f64 v[204:205], v[40:41], s[12:13], v[204:205]
	v_fma_f64 v[218:219], v[40:41], s[40:41], v[202:203]
	v_fma_f64 v[202:203], v[40:41], s[6:7], v[202:203]
	v_fma_f64 v[222:223], v[40:41], s[36:37], v[210:211]
	v_fma_f64 v[210:211], v[40:41], s[18:19], v[210:211]
	v_fma_f64 v[224:225], v[40:41], s[42:43], v[212:213]
	v_fma_f64 v[212:213], v[40:41], s[22:23], v[212:213]
	v_fma_f64 v[230:231], v[40:41], s[44:45], v[216:217]
	v_fma_f64 v[216:217], v[40:41], s[26:27], v[216:217]
	v_fma_f64 v[232:233], v[40:41], s[46:47], v[198:199]
	v_fma_f64 v[40:41], v[40:41], s[30:31], v[198:199]
	v_dual_mov_b32 v199, v85 :: v_dual_mov_b32 v198, v84
	v_dual_mov_b32 v197, v45 :: v_dual_mov_b32 v196, v44
	;; [unrolled: 1-line block ×3, first 2 shown]
	v_mul_f64_e32 v[102:103], s[14:15], v[78:79]
	v_add_f64_e32 v[157:158], v[108:109], v[220:221]
	v_add_f64_e32 v[177:178], v[108:109], v[224:225]
	;; [unrolled: 1-line block ×3, first 2 shown]
	s_wait_loadcnt 0x3
	v_add_f64_e32 v[18:19], v[18:19], v[46:47]
	s_wait_loadcnt 0x1
	v_add_f64_e32 v[126:127], v[52:53], v[126:127]
	v_add_f64_e32 v[52:53], v[68:69], v[138:139]
	scratch_load_b64 v[68:69], off, off offset:124 th:TH_LOAD_LU ; 8-byte Folded Reload
	v_add_f64_e32 v[130:131], v[130:131], v[60:61]
	v_add_f64_e64 v[132:133], v[132:133], -v[58:59]
	v_add_f64_e32 v[138:139], v[226:227], v[169:170]
	scratch_load_b64 v[226:227], off, off offset:148 th:TH_LOAD_LU ; 8-byte Folded Reload
	v_add_f64_e32 v[20:21], v[20:21], v[52:53]
	v_add_f64_e32 v[52:53], v[254:255], v[147:148]
	v_mul_f64_e32 v[161:162], s[20:21], v[130:131]
	v_mov_b32_e32 v255, v168
	v_add_f64_e32 v[50:51], v[244:245], v[138:139]
	scratch_load_b32 v168, off, off         ; 4-byte Folded Reload
	v_dual_mov_b32 v195, v191 :: v_dual_mov_b32 v194, v190
	v_mov_b32_e32 v191, v167
	v_dual_mov_b32 v193, v39 :: v_dual_mov_b32 v192, v38
	v_mov_b32_e32 v190, v166
	v_cmp_gt_u32_e64 s0, 26, v255
	v_add_f64_e32 v[20:21], v[34:35], v[20:21]
	v_add_f64_e32 v[52:53], v[184:185], v[52:53]
	v_fma_f64 v[163:164], v[132:133], s[36:37], v[161:162]
	v_add_f64_e32 v[184:185], v[108:109], v[216:217]
	s_delay_alu instid0(VALU_DEP_4) | instskip(SKIP_1) | instid1(VALU_DEP_4)
	v_add_f64_e32 v[20:21], v[86:87], v[20:21]
	v_add_f64_e32 v[86:87], v[149:150], v[26:27]
	;; [unrolled: 1-line block ×3, first 2 shown]
	v_mul_f64_e32 v[163:164], s[34:35], v[130:131]
	scratch_load_b64 v[26:27], off, off offset:356 th:TH_LOAD_LU ; 8-byte Folded Reload
	v_add_f64_e32 v[52:53], v[186:187], v[52:53]
	v_add_f64_e32 v[186:187], v[108:109], v[232:233]
	v_fma_f64 v[169:170], v[132:133], s[46:47], v[163:164]
	s_delay_alu instid0(VALU_DEP_1) | instskip(SKIP_1) | instid1(VALU_DEP_1)
	v_add_f64_e32 v[2:3], v[169:170], v[2:3]
	v_mul_f64_e32 v[169:170], s[24:25], v[130:131]
	v_fma_f64 v[171:172], v[132:133], s[22:23], v[169:170]
	s_delay_alu instid0(VALU_DEP_1) | instskip(SKIP_1) | instid1(VALU_DEP_1)
	v_add_f64_e32 v[0:1], v[171:172], v[0:1]
	v_mul_f64_e32 v[171:172], s[8:9], v[130:131]
	v_fma_f64 v[173:174], v[132:133], s[6:7], v[171:172]
	s_wait_loadcnt 0x3
	v_add_f64_e32 v[118:119], v[118:119], v[68:69]
	v_add_f64_e32 v[34:35], v[54:55], v[68:69]
	s_delay_alu instid0(VALU_DEP_3)
	v_add_f64_e32 v[12:13], v[173:174], v[12:13]
	v_mul_f64_e32 v[173:174], s[14:15], v[130:131]
	v_mul_f64_e32 v[130:131], s[28:29], v[130:131]
	;; [unrolled: 1-line block ×4, first 2 shown]
	v_add_f64_e32 v[34:35], v[34:35], v[60:61]
	v_fma_f64 v[175:176], v[132:133], s[38:39], v[173:174]
	s_delay_alu instid0(VALU_DEP_2) | instskip(NEXT) | instid1(VALU_DEP_2)
	v_add_f64_e32 v[34:35], v[34:35], v[145:146]
	v_add_f64_e32 v[10:11], v[175:176], v[10:11]
	scratch_load_b64 v[175:176], off, off offset:156 th:TH_LOAD_LU ; 8-byte Folded Reload
	s_wait_loadcnt 0x1
	v_add_f64_e32 v[30:31], v[26:27], v[30:31]
	scratch_load_b64 v[26:27], off, off offset:348 th:TH_LOAD_LU ; 8-byte Folded Reload
	s_wait_loadcnt 0x1
	v_add_f64_e32 v[100:101], v[159:160], v[175:176]
	v_add_f64_e32 v[159:160], v[108:109], v[204:205]
	scratch_load_b64 v[204:205], off, off offset:292 th:TH_LOAD_LU ; 8-byte Folded Reload
	v_add_f64_e32 v[100:101], v[100:101], v[80:81]
	v_add_f64_e64 v[80:81], v[80:81], -v[76:77]
	s_delay_alu instid0(VALU_DEP_2) | instskip(SKIP_1) | instid1(VALU_DEP_3)
	v_add_f64_e32 v[100:101], v[100:101], v[64:65]
	v_add_f64_e64 v[64:65], v[64:65], -v[96:97]
	v_fma_f64 v[54:55], v[80:81], s[44:45], v[48:49]
	s_delay_alu instid0(VALU_DEP_3) | instskip(SKIP_3) | instid1(VALU_DEP_4)
	v_add_f64_e32 v[96:97], v[100:101], v[96:97]
	v_add_f64_e32 v[100:101], v[94:95], v[126:127]
	v_add_f64_e64 v[94:95], v[175:176], -v[72:73]
	v_add_f64_e32 v[175:176], v[108:109], v[210:211]
	v_add_f64_e32 v[76:77], v[96:97], v[76:77]
	v_mul_f64_e32 v[96:97], s[8:9], v[118:119]
	s_delay_alu instid0(VALU_DEP_4) | instskip(NEXT) | instid1(VALU_DEP_3)
	v_fma_f64 v[126:127], v[94:95], s[42:43], v[122:123]
	v_add_f64_e32 v[72:73], v[76:77], v[72:73]
	v_fma_f64 v[76:77], v[94:95], s[36:37], v[74:75]
	s_delay_alu instid0(VALU_DEP_3) | instskip(SKIP_1) | instid1(VALU_DEP_4)
	v_add_f64_e32 v[4:5], v[126:127], v[4:5]
	v_mul_f64_e32 v[126:127], s[28:29], v[118:119]
	v_add_f64_e32 v[36:37], v[72:73], v[58:59]
	s_delay_alu instid0(VALU_DEP_4)
	v_add_f64_e32 v[12:13], v[76:77], v[12:13]
	v_add_f64_e32 v[76:77], v[32:33], v[88:89]
	;; [unrolled: 1-line block ×3, first 2 shown]
	scratch_load_b64 v[50:51], off, off offset:172 th:TH_LOAD_LU ; 8-byte Folded Reload
	v_add_f64_e32 v[18:19], v[18:19], v[42:43]
	v_add_f64_e32 v[58:59], v[188:189], v[112:113]
	v_add_f64_e64 v[42:43], v[42:43], -v[114:115]
	v_add_f64_e32 v[88:89], v[110:111], v[100:101]
	v_add_f64_e32 v[72:73], v[104:105], v[116:117]
	;; [unrolled: 1-line block ×3, first 2 shown]
	v_fma_f64 v[128:129], v[94:95], s[26:27], v[126:127]
	v_mul_f64_e32 v[100:101], s[20:21], v[78:79]
	v_mul_f64_e32 v[104:105], s[34:35], v[124:125]
	v_add_f64_e32 v[4:5], v[54:55], v[4:5]
	v_mul_f64_e32 v[143:144], s[28:29], v[124:125]
	v_add_f64_e32 v[36:37], v[36:37], v[66:67]
	v_mul_f64_e32 v[66:67], s[8:9], v[124:125]
	s_wait_loadcnt 0x2
	v_add_f64_e32 v[32:33], v[26:27], v[32:33]
	v_add_f64_e32 v[18:19], v[18:19], v[198:199]
	;; [unrolled: 1-line block ×6, first 2 shown]
	v_fma_f64 v[128:129], v[94:95], s[6:7], v[96:97]
	v_fma_f64 v[138:139], v[80:81], s[18:19], v[100:101]
	;; [unrolled: 1-line block ×4, first 2 shown]
	v_add_f64_e32 v[18:19], v[18:19], v[194:195]
	v_add_f64_e32 v[0:1], v[128:129], v[0:1]
	;; [unrolled: 1-line block ×3, first 2 shown]
	s_delay_alu instid0(VALU_DEP_3) | instskip(SKIP_1) | instid1(VALU_DEP_2)
	v_add_f64_e32 v[18:19], v[18:19], v[166:167]
	v_add_f64_e32 v[165:166], v[108:109], v[222:223]
	;; [unrolled: 1-line block ×4, first 2 shown]
	v_mul_f64_e32 v[70:71], s[34:35], v[118:119]
	s_delay_alu instid0(VALU_DEP_3) | instskip(NEXT) | instid1(VALU_DEP_2)
	v_add_f64_e32 v[18:19], v[18:19], v[196:197]
	v_fma_f64 v[54:55], v[94:95], s[30:31], v[70:71]
	s_delay_alu instid0(VALU_DEP_2) | instskip(NEXT) | instid1(VALU_DEP_2)
	v_add_f64_e32 v[18:19], v[18:19], v[234:235]
	v_add_f64_e32 v[10:11], v[54:55], v[10:11]
	;; [unrolled: 1-line block ×4, first 2 shown]
	s_delay_alu instid0(VALU_DEP_4) | instskip(NEXT) | instid1(VALU_DEP_1)
	v_add_f64_e32 v[18:19], v[18:19], v[114:115]
	v_add_f64_e32 v[18:19], v[18:19], v[92:93]
	s_wait_loadcnt 0x0
	v_add_f64_e32 v[38:39], v[38:39], v[50:51]
	s_delay_alu instid0(VALU_DEP_2) | instskip(NEXT) | instid1(VALU_DEP_2)
	v_add_f64_e32 v[18:19], v[18:19], v[238:239]
	v_add_f64_e32 v[38:39], v[38:39], v[56:57]
	s_delay_alu instid0(VALU_DEP_1) | instskip(NEXT) | instid1(VALU_DEP_1)
	v_add_f64_e32 v[38:39], v[38:39], v[44:45]
	v_add_f64_e32 v[112:113], v[38:39], v[206:207]
	scratch_load_b32 v39, off, off offset:96 th:TH_LOAD_LU ; 4-byte Folded Reload
	v_add_f64_e32 v[26:27], v[112:113], v[214:215]
	s_delay_alu instid0(VALU_DEP_1) | instskip(SKIP_4) | instid1(VALU_DEP_3)
	v_add_f64_e32 v[188:189], v[26:27], v[204:205]
	scratch_load_b64 v[26:27], off, off offset:100 th:TH_LOAD_LU ; 8-byte Folded Reload
	v_lshrrev_b32_e32 v114, 1, v168
	v_add_f64_e32 v[110:111], v[56:57], v[228:229]
	v_fma_f64 v[56:57], v[80:81], s[38:39], v[102:103]
	v_mul_lo_u32 v38, v114, 26
	v_add_f64_e64 v[114:115], v[46:47], -v[92:93]
	scratch_load_b64 v[46:47], off, off offset:244 th:TH_LOAD_LU ; 8-byte Folded Reload
	v_mul_f64_e32 v[92:93], s[34:35], v[78:79]
	v_mul_f64_e32 v[78:79], s[24:25], v[78:79]
	;; [unrolled: 1-line block ×8, first 2 shown]
	v_add_f64_e32 v[0:1], v[56:57], v[0:1]
	s_wait_loadcnt 0x2
	v_or_b32_e32 v38, v38, v39
	v_add_f64_e32 v[39:40], v[108:109], v[40:41]
	s_delay_alu instid0(VALU_DEP_2)
	v_lshl_add_u32 v38, v38, 3, 0
	s_wait_loadcnt 0x1
	v_add_f64_e32 v[26:27], v[34:35], v[26:27]
	v_fma_f64 v[34:35], v[132:133], s[44:45], v[130:131]
	s_wait_loadcnt 0x0
	v_add_f64_e32 v[76:77], v[46:47], v[76:77]
	scratch_load_b64 v[46:47], off, off offset:252 th:TH_LOAD_LU ; 8-byte Folded Reload
	v_add_f64_e32 v[16:17], v[34:35], v[16:17]
	s_wait_loadcnt 0x0
	v_add_f64_e32 v[88:89], v[46:47], v[88:89]
	scratch_load_b64 v[46:47], off, off offset:116 th:TH_LOAD_LU ; 8-byte Folded Reload
	v_add_f64_e32 v[50:51], v[50:51], v[226:227]
	ds_store_b64 v140, v[88:89] offset:192
	v_fma_f64 v[88:89], v[64:65], s[44:45], v[143:144]
	v_mul_f64_e32 v[120:121], s[14:15], v[50:51]
	v_mul_f64_e32 v[82:83], s[24:25], v[50:51]
	;; [unrolled: 1-line block ×6, first 2 shown]
	v_add_f64_e32 v[88:89], v[88:89], v[0:1]
	v_fma_f64 v[151:152], v[114:115], s[38:39], v[120:121]
	v_fma_f64 v[155:156], v[114:115], s[42:43], v[82:83]
	;; [unrolled: 1-line block ×11, first 2 shown]
	v_add_f64_e32 v[82:83], v[82:83], v[159:160]
	v_add_f64_e32 v[56:57], v[56:57], v[177:178]
	;; [unrolled: 1-line block ×7, first 2 shown]
	v_fma_f64 v[50:51], v[42:43], s[36:37], v[147:148]
	s_wait_loadcnt 0x0
	v_add_f64_e32 v[36:37], v[36:37], v[46:47]
	scratch_load_b64 v[46:47], off, off offset:340 th:TH_LOAD_LU ; 8-byte Folded Reload
	s_wait_loadcnt 0x0
	v_add_f64_e32 v[72:73], v[46:47], v[72:73]
	scratch_load_b64 v[46:47], off, off offset:324 th:TH_LOAD_LU ; 8-byte Folded Reload
	ds_store_2addr_b64 v140, v[36:37], v[76:77] offset1:2
	ds_store_2addr_b64 v38, v[18:19], v[20:21] offset1:2
	ds_store_2addr_b64 v38, v[24:25], v[22:23] offset0:4 offset1:6
	ds_store_2addr_b64 v38, v[28:29], v[86:87] offset0:8 offset1:10
	;; [unrolled: 1-line block ×5, first 2 shown]
	v_fma_f64 v[18:19], v[132:133], s[26:27], v[130:131]
	v_mul_f64_e32 v[22:23], s[14:15], v[118:119]
	v_fma_f64 v[30:31], v[132:133], s[40:41], v[171:172]
	v_fma_f64 v[32:33], v[132:133], s[12:13], v[173:174]
	;; [unrolled: 1-line block ×3, first 2 shown]
	v_add_f64_e32 v[58:59], v[108:109], v[202:203]
	v_fma_f64 v[72:73], v[114:115], s[12:13], v[120:121]
	v_add_f64_e32 v[76:77], v[151:152], v[84:85]
	v_add_f64_e32 v[84:85], v[155:156], v[157:158]
	;; [unrolled: 1-line block ×4, first 2 shown]
	v_fma_f64 v[116:117], v[42:43], s[46:47], v[149:150]
	v_fma_f64 v[118:119], v[42:43], s[30:31], v[149:150]
	v_fma_f64 v[120:121], v[42:43], s[22:23], v[112:113]
	v_fma_f64 v[112:113], v[42:43], s[42:43], v[112:113]
	v_fma_f64 v[128:129], v[42:43], s[6:7], v[153:154]
	v_fma_f64 v[130:131], v[42:43], s[40:41], v[153:154]
	v_add_f64_e64 v[138:139], v[198:199], -v[234:235]
	v_fma_f64 v[153:154], v[80:81], s[30:31], v[92:93]
	v_fma_f64 v[157:158], v[80:81], s[6:7], v[141:142]
	s_clause 0x3
	scratch_load_b64 v[210:211], off, off offset:284 th:TH_LOAD_LU
	scratch_load_b64 v[24:25], off, off offset:228 th:TH_LOAD_LU
	;; [unrolled: 1-line block ×4, first 2 shown]
	v_add_f64_e32 v[14:15], v[18:19], v[14:15]
	v_add_f64_e32 v[58:59], v[72:73], v[58:59]
	;; [unrolled: 1-line block ×4, first 2 shown]
	v_add_f64_e64 v[116:117], v[194:195], -v[196:197]
	v_add_f64_e32 v[76:77], v[120:121], v[86:87]
	v_add_f64_e32 v[56:57], v[128:129], v[56:57]
	;; [unrolled: 1-line block ×3, first 2 shown]
	v_mul_f64_e32 v[128:129], s[24:25], v[124:125]
	v_add_f64_e32 v[12:13], v[153:154], v[12:13]
	v_add_f64_e32 v[10:11], v[157:158], v[10:11]
	s_wait_loadcnt 0x4
	v_add_f64_e32 v[62:63], v[46:47], v[62:63]
	v_fma_f64 v[46:47], v[132:133], s[30:31], v[163:164]
	ds_store_b64 v38, v[62:63] offset:192
	s_wait_loadcnt 0x3
	v_add_f64_e32 v[20:21], v[44:45], v[210:211]
	v_fma_f64 v[44:45], v[132:133], s[18:19], v[161:162]
	s_wait_loadcnt 0x1
	v_add_f64_e32 v[6:7], v[6:7], v[36:37]
	scratch_load_b64 v[36:37], off, off offset:212 th:TH_LOAD_LU ; 8-byte Folded Reload
	v_add_f64_e32 v[24:25], v[208:209], v[24:25]
	s_wait_loadcnt 0x1
	v_add_f64_e32 v[28:29], v[200:201], v[28:29]
	v_fma_f64 v[132:133], v[42:43], s[38:39], v[90:91]
	v_fma_f64 v[90:91], v[42:43], s[12:13], v[90:91]
	scratch_load_b64 v[161:162], off, off offset:276 th:TH_LOAD_LU ; 8-byte Folded Reload
	v_mul_f64_e32 v[149:150], s[24:25], v[20:21]
	v_mul_f64_e32 v[151:152], s[28:29], v[20:21]
	;; [unrolled: 1-line block ×6, first 2 shown]
	v_fma_f64 v[20:21], v[94:95], s[12:13], v[22:23]
	v_add_f64_e32 v[24:25], v[30:31], v[24:25]
	v_fma_f64 v[30:31], v[94:95], s[18:19], v[74:75]
	v_fma_f64 v[22:23], v[94:95], s[38:39], v[22:23]
	v_add_f64_e32 v[6:7], v[44:45], v[6:7]
	v_fma_f64 v[44:45], v[94:95], s[22:23], v[122:123]
	v_add_f64_e32 v[28:29], v[32:33], v[28:29]
	;; [unrolled: 2-line block ×3, first 2 shown]
	v_add_f64_e32 v[82:83], v[112:113], v[108:109]
	v_add_f64_e32 v[84:85], v[132:133], v[98:99]
	;; [unrolled: 1-line block ×3, first 2 shown]
	v_mul_f64_e32 v[122:123], s[14:15], v[124:125]
	v_mul_f64_e32 v[124:125], s[20:21], v[124:125]
	v_fma_f64 v[86:87], v[138:139], s[42:43], v[149:150]
	v_fma_f64 v[90:91], v[138:139], s[26:27], v[151:152]
	;; [unrolled: 1-line block ×6, first 2 shown]
	v_add_f64_e32 v[16:17], v[20:21], v[16:17]
	v_add_f64_e32 v[20:21], v[214:215], v[204:205]
	;; [unrolled: 1-line block ×4, first 2 shown]
	v_fma_f64 v[22:23], v[80:81], s[42:43], v[78:79]
	v_fma_f64 v[78:79], v[80:81], s[22:23], v[78:79]
	v_add_f64_e32 v[6:7], v[44:45], v[6:7]
	v_add_f64_e32 v[28:29], v[32:33], v[28:29]
	v_fma_f64 v[32:33], v[80:81], s[46:47], v[92:93]
	v_fma_f64 v[92:93], v[80:81], s[40:41], v[141:142]
	v_add_f64_e32 v[56:57], v[108:109], v[56:57]
	v_add_f64_e32 v[34:35], v[34:35], v[68:69]
	v_mul_f64_e32 v[108:109], s[14:15], v[20:21]
	v_add_f64_e32 v[16:17], v[22:23], v[16:17]
	v_add_f64_e32 v[14:15], v[78:79], v[14:15]
	v_fma_f64 v[78:79], v[64:65], s[36:37], v[124:125]
	v_fma_f64 v[22:23], v[64:65], s[18:19], v[124:125]
	v_add_f64_e32 v[24:25], v[32:33], v[24:25]
	v_add_f64_e32 v[28:29], v[92:93], v[28:29]
	v_fma_f64 v[32:33], v[64:65], s[38:39], v[122:123]
	v_add_f64_e32 v[14:15], v[78:79], v[14:15]
	v_add_f64_e32 v[16:17], v[22:23], v[16:17]
	s_delay_alu instid0(VALU_DEP_3)
	v_add_f64_e32 v[22:23], v[32:33], v[24:25]
	s_wait_loadcnt 0x1
	v_add_f64_e32 v[8:9], v[8:9], v[36:37]
	scratch_load_b64 v[36:37], off, off offset:220 th:TH_LOAD_LU ; 8-byte Folded Reload
	global_wb scope:SCOPE_SE
	s_wait_storecnt 0x0
	s_wait_loadcnt_dscnt 0x0
	s_barrier_signal -1
	s_barrier_wait -1
	global_inv scope:SCOPE_SE
	s_clause 0x2
	scratch_load_b32 v142, off, off offset:64 th:TH_LOAD_LU
	scratch_load_b32 v124, off, off offset:4
	scratch_load_b32 v254, off, off offset:76
	v_add_f64_e32 v[114:115], v[188:189], v[161:162]
	v_add_f64_e32 v[161:162], v[206:207], v[161:162]
	scratch_load_b32 v189, off, off offset:48 ; 4-byte Folded Reload
	v_add_f64_e32 v[8:9], v[46:47], v[8:9]
	v_fma_f64 v[46:47], v[94:95], s[44:45], v[126:127]
	v_add_f64_e32 v[70:71], v[114:115], v[210:211]
	v_fma_f64 v[114:115], v[138:139], s[12:13], v[18:19]
	v_fma_f64 v[18:19], v[138:139], s[38:39], v[18:19]
	v_mul_f64_e32 v[118:119], s[28:29], v[161:162]
	v_mul_f64_e32 v[120:121], s[20:21], v[161:162]
	;; [unrolled: 1-line block ×6, first 2 shown]
	v_add_f64_e32 v[8:9], v[46:47], v[8:9]
	v_fma_f64 v[45:46], v[80:81], s[36:37], v[100:101]
	v_mul_f64_e32 v[100:101], s[8:9], v[20:21]
	v_fma_f64 v[68:69], v[116:117], s[18:19], v[120:121]
	s_delay_alu instid0(VALU_DEP_3) | instskip(SKIP_1) | instid1(VALU_DEP_1)
	v_add_f64_e32 v[8:9], v[45:46], v[8:9]
	v_fma_f64 v[45:46], v[64:65], s[40:41], v[66:67]
	v_add_f64_e32 v[8:9], v[45:46], v[8:9]
	v_add_f64_e32 v[36:37], v[134:135], v[36:37]
	v_fma_f64 v[134:135], v[42:43], s[44:45], v[110:111]
	v_fma_f64 v[110:111], v[42:43], s[26:27], v[110:111]
	v_fma_f64 v[41:42], v[42:43], s[18:19], v[147:148]
	v_fma_f64 v[43:44], v[80:81], s[26:27], v[48:49]
	v_fma_f64 v[47:48], v[80:81], s[12:13], v[102:103]
	v_add_f64_e32 v[49:50], v[86:87], v[50:51]
	v_add_f64_e32 v[80:81], v[112:113], v[84:85]
	v_fma_f64 v[84:85], v[116:117], s[38:39], v[126:127]
	v_fma_f64 v[86:87], v[116:117], s[12:13], v[126:127]
	v_mul_f64_e32 v[102:103], s[28:29], v[20:21]
	scratch_load_b32 v148, off, off offset:88 th:TH_LOAD_LU ; 4-byte Folded Reload
	v_fma_f64 v[112:113], v[116:117], s[46:47], v[130:131]
	v_fma_f64 v[126:127], v[64:65], s[12:13], v[122:123]
	v_add_f64_e32 v[36:37], v[52:53], v[36:37]
	v_fma_f64 v[52:53], v[94:95], s[40:41], v[96:97]
	v_add_f64_e32 v[4:5], v[134:135], v[4:5]
	v_add_f64_e32 v[39:40], v[110:111], v[39:40]
	v_fma_f64 v[94:95], v[138:139], s[44:45], v[151:152]
	v_fma_f64 v[96:97], v[138:139], s[6:7], v[155:156]
	;; [unrolled: 1-line block ×3, first 2 shown]
	v_add_f64_e32 v[6:7], v[43:44], v[6:7]
	v_fma_f64 v[43:44], v[64:65], s[30:31], v[104:105]
	v_add_f64_e32 v[41:42], v[41:42], v[58:59]
	v_fma_f64 v[58:59], v[138:139], s[22:23], v[149:150]
	v_add_f64_e32 v[12:13], v[126:127], v[12:13]
	v_add_f64_e32 v[36:37], v[52:53], v[36:37]
	;; [unrolled: 1-line block ×10, first 2 shown]
	v_fma_f64 v[39:40], v[116:117], s[44:45], v[118:119]
	v_fma_f64 v[82:83], v[116:117], s[36:37], v[120:121]
	v_add_f64_e64 v[96:97], v[190:191], -v[192:193]
	v_mul_f64_e32 v[98:99], s[34:35], v[20:21]
	v_mul_f64_e32 v[110:111], s[24:25], v[20:21]
	v_fma_f64 v[114:115], v[116:117], s[40:41], v[132:133]
	v_fma_f64 v[120:121], v[116:117], s[42:43], v[30:31]
	;; [unrolled: 1-line block ×3, first 2 shown]
	v_mul_f64_e32 v[20:21], s[20:21], v[20:21]
	v_add_f64_e32 v[78:79], v[43:44], v[6:7]
	s_clause 0x2
	scratch_load_b32 v6, off, off offset:92
	scratch_load_b32 v139, off, off offset:84 th:TH_LOAD_LU
	scratch_load_b32 v190, off, off offset:52 th:TH_LOAD_LU
	v_fma_f64 v[90:91], v[116:117], s[30:31], v[130:131]
	v_fma_f64 v[94:95], v[116:117], s[6:7], v[132:133]
	v_add_f64_e32 v[41:42], v[58:59], v[41:42]
	v_fma_f64 v[58:59], v[116:117], s[26:27], v[118:119]
	v_fma_f64 v[130:131], v[64:65], s[42:43], v[128:129]
	;; [unrolled: 1-line block ×3, first 2 shown]
	v_add_f64_e32 v[36:37], v[47:48], v[36:37]
	v_fma_f64 v[47:48], v[64:65], s[26:27], v[143:144]
	v_add_f64_e32 v[51:52], v[52:53], v[226:227]
	v_add_f64_e32 v[66:67], v[84:85], v[74:75]
	;; [unrolled: 1-line block ×6, first 2 shown]
	v_fma_f64 v[104:105], v[96:97], s[26:27], v[102:103]
	v_fma_f64 v[86:87], v[96:97], s[22:23], v[110:111]
	v_add_f64_e32 v[34:35], v[114:115], v[34:35]
	v_add_f64_e32 v[4:5], v[120:121], v[4:5]
	;; [unrolled: 1-line block ×3, first 2 shown]
	v_fma_f64 v[84:85], v[96:97], s[18:19], v[20:21]
	v_fma_f64 v[20:21], v[96:97], s[36:37], v[20:21]
	v_add_f64_e32 v[64:65], v[82:83], v[72:73]
	v_fma_f64 v[72:73], v[96:97], s[46:47], v[98:99]
	v_fma_f64 v[74:75], v[96:97], s[6:7], v[100:101]
	v_add_f64_e32 v[56:57], v[90:91], v[56:57]
	v_add_f64_e32 v[70:71], v[94:95], v[80:81]
	v_fma_f64 v[76:77], v[96:97], s[44:45], v[102:103]
	v_fma_f64 v[80:81], v[96:97], s[12:13], v[108:109]
	;; [unrolled: 1-line block ×4, first 2 shown]
	v_add_f64_e32 v[41:42], v[58:59], v[41:42]
	v_fma_f64 v[58:59], v[96:97], s[30:31], v[98:99]
	v_fma_f64 v[100:101], v[96:97], s[40:41], v[100:101]
	v_add_f64_e32 v[96:97], v[145:146], v[2:3]
	v_add_f64_e32 v[24:25], v[116:117], v[28:29]
	;; [unrolled: 1-line block ×3, first 2 shown]
	s_wait_loadcnt 0x4
	ds_load_b64 v[114:115], v189
	v_add_f64_e32 v[36:37], v[47:48], v[36:37]
	v_add_f64_e32 v[52:53], v[51:52], v[236:237]
	;; [unrolled: 1-line block ×6, first 2 shown]
	s_clause 0x2
	scratch_load_b32 v104, off, off offset:80
	scratch_load_b32 v252, off, off offset:72
	scratch_load_b32 v144, off, off offset:60 th:TH_LOAD_LU
	ds_load_b64 v[94:95], v142
	v_add_f64_e32 v[72:73], v[72:73], v[39:40]
	v_add_f64_e32 v[98:99], v[74:75], v[49:50]
	;; [unrolled: 1-line block ×5, first 2 shown]
	ds_load_b64 v[76:77], v124
	v_add_f64_e32 v[82:83], v[30:31], v[60:61]
	v_add_f64_e32 v[58:59], v[58:59], v[41:42]
	ds_load_2addr_b64 v[48:51], v254 offset0:164 offset1:216
	v_add_f64_e32 v[64:65], v[100:101], v[64:65]
	s_wait_loadcnt 0x6
	ds_load_b64 v[90:91], v148
	s_wait_loadcnt 0x5
	v_dual_mov_b32 v105, v6 :: v_dual_and_b32 v4, 0xff, v168
	s_wait_loadcnt 0x4
	ds_load_b64 v[108:109], v139
	s_wait_loadcnt 0x3
	ds_load_b64 v[74:75], v190
	ds_load_b64 v[102:103], v6 offset:10400
	ds_load_2addr_b64 v[0:3], v6 offset1:156
	v_mul_lo_u16 v39, 0x4f, v4
	s_delay_alu instid0(VALU_DEP_1)
	v_lshrrev_b16 v39, 11, v39
	s_wait_loadcnt 0x2
	ds_load_2addr_b64 v[40:43], v104 offset0:12 offset1:64
	ds_load_2addr_b64 v[44:47], v104 offset0:116 offset1:168
	s_wait_loadcnt 0x0
	ds_load_b64 v[92:93], v144
	ds_load_2addr_b64 v[32:35], v252 offset0:92 offset1:144
	ds_load_2addr_b64 v[28:31], v179 offset0:68 offset1:120
	;; [unrolled: 1-line block ×3, first 2 shown]
	s_clause 0x1
	scratch_load_b32 v253, off, off offset:44
	scratch_load_b32 v149, off, off offset:56 th:TH_LOAD_LU
	scratch_store_b32 off, v39, off offset:96 ; 4-byte Folded Spill
	v_mul_lo_u16 v39, v39, 26
	s_wait_loadcnt 0x1
	ds_load_2addr_b64 v[68:71], v253 offset0:4 offset1:108
	s_wait_loadcnt 0x0
	ds_load_2addr_b64 v[60:63], v149 offset0:84 offset1:188
	global_wb scope:SCOPE_SE
	s_wait_storecnt_dscnt 0x0
	s_barrier_signal -1
	s_barrier_wait -1
	global_inv scope:SCOPE_SE
	ds_store_2addr_b64 v140, v[26:27], v[54:55] offset1:2
	ds_store_2addr_b64 v140, v[96:97], v[88:89] offset0:4 offset1:6
	ds_store_2addr_b64 v140, v[12:13], v[10:11] offset0:8 offset1:10
	;; [unrolled: 1-line block ×5, first 2 shown]
	v_subrev_nc_u32_e32 v8, 26, v255
	v_sub_nc_u16 v26, v168, v39
	ds_store_b64 v140, v[78:79] offset:192
	ds_store_2addr_b64 v38, v[52:53], v[72:73] offset1:2
	ds_store_2addr_b64 v38, v[98:99], v[66:67] offset0:4 offset1:6
	ds_store_2addr_b64 v38, v[56:57], v[80:81] offset0:8 offset1:10
	v_mov_b32_e32 v9, 0
	s_wait_alu 0xf1ff
	v_cndmask_b32_e64 v155, v8, v255, s0
	scratch_store_b32 off, v8, off offset:100 ; 4-byte Folded Spill
	v_and_b32_e32 v154, 0xff, v26
	ds_store_2addr_b64 v38, v[84:85], v[18:19] offset0:12 offset1:14
	ds_store_2addr_b64 v38, v[20:21], v[82:83] offset0:16 offset1:18
	ds_store_2addr_b64 v38, v[86:87], v[64:65] offset0:20 offset1:22
	ds_store_b64 v38, v[58:59] offset:192
	v_mul_i32_i24_e32 v8, 12, v155
	global_wb scope:SCOPE_SE
	s_wait_storecnt_dscnt 0x0
	v_mul_u32_u24_e32 v10, 12, v154
	s_barrier_signal -1
	s_barrier_wait -1
	v_lshlrev_b64_e32 v[8:9], 4, v[8:9]
	global_inv scope:SCOPE_SE
	v_lshlrev_b32_e32 v10, 4, v10
	v_add_co_u32 v8, s1, s4, v8
	s_wait_alu 0xf1ff
	v_add_co_ci_u32_e64 v9, s1, s5, v9, s1
	s_clause 0x17
	global_load_b128 v[36:39], v10, s[4:5] offset:400
	global_load_b128 v[78:81], v10, s[4:5] offset:416
	global_load_b128 v[96:99], v[8:9], off offset:560
	global_load_b128 v[82:85], v[8:9], off offset:384
	;; [unrolled: 1-line block ×10, first 2 shown]
	global_load_b128 v[195:198], v10, s[4:5] offset:432
	global_load_b128 v[199:202], v10, s[4:5] offset:448
	global_load_b128 v[203:206], v[8:9], off offset:480
	global_load_b128 v[207:210], v10, s[4:5] offset:464
	global_load_b128 v[211:214], v10, s[4:5] offset:480
	;; [unrolled: 1-line block ×6, first 2 shown]
	global_load_b128 v[24:27], v[8:9], off offset:464
	global_load_b128 v[12:15], v10, s[4:5] offset:560
	global_load_b128 v[8:11], v10, s[4:5] offset:384
	ds_load_2addr_b64 v[116:119], v253 offset0:4 offset1:108
	ds_load_b64 v[100:101], v124
	ds_load_b64 v[124:125], v190
	;; [unrolled: 1-line block ×5, first 2 shown]
	ds_load_2addr_b64 v[223:226], v149 offset0:84 offset1:188
	ds_load_2addr_b64 v[52:55], v179 offset0:172 offset1:224
	;; [unrolled: 1-line block ×3, first 2 shown]
	ds_load_b64 v[169:170], v148
	ds_load_2addr_b64 v[149:152], v252 offset0:92 offset1:144
	ds_load_b64 v[138:139], v139
	ds_load_2addr_b64 v[231:234], v254 offset0:164 offset1:216
	ds_load_2addr_b64 v[56:59], v251 offset0:68 offset1:120
	ds_load_2addr_b64 v[235:238], v104 offset0:12 offset1:64
	v_cmp_lt_u32_e64 s1, 25, v255
	s_wait_loadcnt_dscnt 0x160e
	v_mul_f64_e32 v[72:73], v[118:119], v[80:81]
	s_wait_loadcnt 0x15
	v_mul_f64_e32 v[130:131], v[6:7], v[98:99]
	s_wait_loadcnt 0x14
	v_mul_f64_e32 v[140:141], v[76:77], v[84:85]
	v_mul_f64_e32 v[80:81], v[70:71], v[80:81]
	s_wait_dscnt 0xd
	v_mul_f64_e32 v[84:85], v[100:101], v[84:85]
	s_wait_loadcnt_dscnt 0x130c
	v_mul_f64_e32 v[146:147], v[124:125], v[88:89]
	v_mul_f64_e32 v[160:161], v[74:75], v[88:89]
	s_wait_loadcnt 0x12
	v_mul_f64_e32 v[162:163], v[30:31], v[128:129]
	s_wait_loadcnt 0x11
	v_mul_f64_e32 v[164:165], v[94:95], v[112:113]
	s_wait_dscnt 0xa
	v_mul_f64_e32 v[183:184], v[142:143], v[112:113]
	s_wait_loadcnt 0xc
	v_mul_f64_e32 v[181:182], v[90:91], v[193:194]
	s_wait_dscnt 0x7
	v_mul_f64_e32 v[98:99], v[54:55], v[98:99]
	v_mul_f64_e32 v[166:167], v[34:35], v[134:135]
	;; [unrolled: 1-line block ×6, first 2 shown]
	s_wait_dscnt 0x4
	v_mul_f64_e32 v[134:135], v[151:152], v[134:135]
	ds_load_b64 v[112:113], v105 offset:10400
	s_wait_dscnt 0x1
	v_mul_f64_e32 v[175:176], v[237:238], v[175:176]
	v_mul_f64_e32 v[66:67], v[116:117], v[38:39]
	;; [unrolled: 1-line block ×3, first 2 shown]
	s_wait_loadcnt 0xa
	v_mul_f64_e32 v[187:188], v[225:226], v[201:202]
	v_fma_f64 v[70:71], v[70:71], v[78:79], v[72:73]
	v_fma_f64 v[72:73], v[54:55], v[96:97], -v[130:131]
	v_fma_f64 v[88:89], v[100:101], v[82:83], -v[140:141]
	v_mul_f64_e32 v[100:101], v[169:170], v[193:194]
	v_fma_f64 v[54:55], v[118:119], v[78:79], -v[80:81]
	v_fma_f64 v[118:119], v[74:75], v[86:87], v[146:147]
	v_mul_f64_e32 v[146:147], v[58:59], v[128:129]
	v_fma_f64 v[78:79], v[124:125], v[86:87], -v[160:161]
	v_fma_f64 v[58:59], v[58:59], v[126:127], -v[162:163]
	v_fma_f64 v[122:123], v[94:95], v[110:111], v[183:184]
	v_fma_f64 v[86:87], v[169:170], v[191:192], -v[181:182]
	s_wait_loadcnt 0x5
	v_mul_f64_e32 v[169:170], v[149:150], v[221:222]
	v_fma_f64 v[128:129], v[6:7], v[96:97], v[98:99]
	s_wait_loadcnt 0x4
	v_mul_f64_e32 v[98:99], v[56:57], v[22:23]
	v_mul_f64_e32 v[140:141], v[223:224], v[197:198]
	;; [unrolled: 1-line block ×3, first 2 shown]
	v_fma_f64 v[74:75], v[151:152], v[132:133], -v[166:167]
	v_fma_f64 v[80:81], v[237:238], v[173:174], -v[179:180]
	v_mul_f64_e32 v[94:95], v[235:236], v[213:214]
	s_wait_loadcnt 0x3
	v_mul_f64_e32 v[179:180], v[52:53], v[18:19]
	v_fma_f64 v[68:69], v[68:69], v[36:37], v[66:67]
	v_fma_f64 v[66:67], v[116:117], v[36:37], -v[38:39]
	v_fma_f64 v[116:117], v[76:77], v[82:83], v[84:85]
	v_fma_f64 v[82:83], v[142:143], v[110:111], -v[164:165]
	ds_load_2addr_b64 v[36:39], v105 offset1:156
	v_mul_f64_e32 v[142:143], v[50:51], v[205:206]
	v_fma_f64 v[76:77], v[229:230], v[156:157], -v[171:172]
	v_fma_f64 v[84:85], v[144:145], v[120:121], -v[177:178]
	v_mul_f64_e32 v[144:145], v[231:232], v[209:210]
	v_mul_f64_e32 v[171:172], v[32:33], v[221:222]
	;; [unrolled: 1-line block ×4, first 2 shown]
	v_fma_f64 v[132:133], v[34:35], v[132:133], v[134:135]
	s_wait_loadcnt_dscnt 0x101
	v_mul_f64_e32 v[18:19], v[112:113], v[14:15]
	v_mul_f64_e32 v[14:15], v[102:103], v[14:15]
	s_wait_loadcnt 0x0
	v_mul_f64_e32 v[6:7], v[2:3], v[10:11]
	v_mul_f64_e32 v[158:159], v[60:61], v[197:198]
	v_mul_f64_e32 v[160:161], v[62:63], v[201:202]
	v_mul_f64_e32 v[193:194], v[233:234], v[205:206]
	v_mul_f64_e32 v[151:152], v[48:49], v[209:210]
	v_add_f64_e64 v[110:111], v[88:89], -v[72:73]
	v_mul_f64_e32 v[162:163], v[40:41], v[213:214]
	v_mul_f64_e32 v[164:165], v[227:228], v[217:218]
	v_fma_f64 v[124:125], v[92:93], v[120:121], v[185:186]
	v_fma_f64 v[134:135], v[30:31], v[126:127], v[146:147]
	s_wait_dscnt 0x0
	v_mul_f64_e32 v[22:23], v[38:39], v[10:11]
	v_add_f64_e64 v[10:11], v[78:79], -v[58:59]
	v_mul_f64_e32 v[166:167], v[44:45], v[217:218]
	v_fma_f64 v[120:121], v[90:91], v[191:192], v[100:101]
	v_fma_f64 v[96:97], v[32:33], v[219:220], v[169:170]
	v_mul_f64_e32 v[183:184], v[108:109], v[26:27]
	v_fma_f64 v[98:99], v[28:29], v[20:21], v[98:99]
	v_fma_f64 v[126:127], v[42:43], v[173:174], v[175:176]
	;; [unrolled: 1-line block ×3, first 2 shown]
	v_mul_f64_e32 v[156:157], v[138:139], v[26:27]
	v_fma_f64 v[60:61], v[60:61], v[195:196], v[140:141]
	v_add_f64_e64 v[34:35], v[86:87], -v[80:81]
	v_fma_f64 v[92:93], v[40:41], v[211:212], v[94:95]
	v_fma_f64 v[146:147], v[4:5], v[16:17], v[179:180]
	;; [unrolled: 1-line block ×3, first 2 shown]
	v_add_f64_e32 v[28:29], v[116:117], v[128:129]
	v_add_f64_e64 v[26:27], v[82:83], -v[74:75]
	v_fma_f64 v[100:101], v[233:234], v[203:204], -v[142:143]
	v_add_f64_e64 v[30:31], v[84:85], -v[76:77]
	v_fma_f64 v[90:91], v[48:49], v[207:208], v[144:145]
	v_fma_f64 v[40:41], v[149:150], v[219:220], -v[171:172]
	v_fma_f64 v[56:57], v[56:57], v[20:21], -v[177:178]
	;; [unrolled: 1-line block ×6, first 2 shown]
	v_fma_f64 v[158:159], v[50:51], v[203:204], v[193:194]
	v_fma_f64 v[48:49], v[231:232], v[207:208], -v[151:152]
	v_mul_f64_e32 v[32:33], s[12:13], v[110:111]
	v_mul_f64_e32 v[140:141], s[18:19], v[110:111]
	;; [unrolled: 1-line block ×6, first 2 shown]
	v_fma_f64 v[110:111], v[102:103], v[12:13], v[18:19]
	v_fma_f64 v[102:103], v[112:113], v[12:13], -v[14:15]
	v_fma_f64 v[112:113], v[2:3], v[8:9], v[22:23]
	v_add_f64_e32 v[2:3], v[118:119], v[134:135]
	v_mul_f64_e32 v[18:19], s[22:23], v[10:11]
	v_fma_f64 v[50:51], v[235:236], v[211:212], -v[162:163]
	v_fma_f64 v[94:95], v[44:45], v[215:216], v[164:165]
	v_fma_f64 v[44:45], v[227:228], v[215:216], -v[166:167]
	v_fma_f64 v[160:161], v[108:109], v[24:25], v[156:157]
	v_fma_f64 v[108:109], v[138:139], v[24:25], -v[183:184]
	v_add_f64_e32 v[12:13], v[122:123], v[132:133]
	v_add_f64_e32 v[14:15], v[124:125], v[130:131]
	;; [unrolled: 1-line block ×3, first 2 shown]
	v_mul_f64_e32 v[20:21], s[30:31], v[10:11]
	v_mul_f64_e32 v[152:153], s[36:37], v[34:35]
	v_mul_f64_e32 v[22:23], s[30:31], v[26:27]
	v_mul_f64_e32 v[24:25], s[42:43], v[26:27]
	v_mul_f64_e32 v[156:157], s[12:13], v[34:35]
	v_mul_f64_e32 v[162:163], s[44:45], v[10:11]
	v_mul_f64_e32 v[138:139], s[44:45], v[30:31]
	v_mul_f64_e32 v[150:151], s[40:41], v[30:31]
	v_mul_f64_e32 v[164:165], s[36:37], v[10:11]
	v_mul_f64_e32 v[166:167], s[40:41], v[26:27]
	v_mul_f64_e32 v[169:170], s[12:13], v[26:27]
	v_mul_f64_e32 v[171:172], s[18:19], v[30:31]
	v_mul_f64_e32 v[173:174], s[46:47], v[30:31]
	v_mul_f64_e32 v[175:176], s[46:47], v[34:35]
	v_mul_f64_e32 v[177:178], s[40:41], v[34:35]
	v_mul_f64_e32 v[179:180], s[40:41], v[10:11]
	v_mul_f64_e32 v[6:7], s[26:27], v[26:27]
	v_mul_f64_e32 v[195:196], s[22:23], v[34:35]
	v_mul_f64_e32 v[10:11], s[12:13], v[10:11]
	v_fma_f64 v[181:182], v[28:29], s[14:15], v[32:33]
	v_fma_f64 v[183:184], v[28:29], s[20:21], v[140:141]
	;; [unrolled: 1-line block ×5, first 2 shown]
	v_fma_f64 v[148:149], v[28:29], s[34:35], -v[148:149]
	v_fma_f64 v[142:143], v[28:29], s[24:25], -v[142:143]
	;; [unrolled: 1-line block ×5, first 2 shown]
	v_fma_f64 v[193:194], v[28:29], s[8:9], v[4:5]
	v_fma_f64 v[4:5], v[28:29], s[8:9], -v[4:5]
	v_mul_f64_e32 v[28:29], s[38:39], v[30:31]
	v_mul_f64_e32 v[26:27], s[18:19], v[26:27]
	;; [unrolled: 1-line block ×4, first 2 shown]
	v_fma_f64 v[197:198], v[2:3], s[24:25], v[18:19]
	v_add_f64_e32 v[8:9], v[0:1], v[116:117]
	v_fma_f64 v[18:19], v[2:3], s[24:25], -v[18:19]
	v_fma_f64 v[199:200], v[2:3], s[34:35], v[20:21]
	v_fma_f64 v[209:210], v[16:17], s[20:21], v[152:153]
	;; [unrolled: 1-line block ×16, first 2 shown]
	v_fma_f64 v[179:180], v[2:3], s[8:9], -v[179:180]
	v_fma_f64 v[231:232], v[12:13], s[28:29], v[6:7]
	v_fma_f64 v[6:7], v[12:13], s[28:29], -v[6:7]
	v_add_f64_e32 v[181:182], v[0:1], v[181:182]
	v_add_f64_e32 v[183:184], v[0:1], v[183:184]
	;; [unrolled: 1-line block ×12, first 2 shown]
	v_fma_f64 v[4:5], v[14:15], s[14:15], v[28:29]
	v_fma_f64 v[28:29], v[14:15], s[14:15], -v[28:29]
	v_fma_f64 v[162:163], v[2:3], s[28:29], -v[162:163]
	;; [unrolled: 1-line block ×12, first 2 shown]
	v_fma_f64 v[233:234], v[2:3], s[14:15], v[10:11]
	v_fma_f64 v[2:3], v[2:3], s[14:15], -v[10:11]
	v_fma_f64 v[10:11], v[12:13], s[20:21], v[26:27]
	v_fma_f64 v[12:13], v[12:13], s[20:21], -v[26:27]
	;; [unrolled: 2-line block ×4, first 2 shown]
	v_fma_f64 v[175:176], v[16:17], s[34:35], -v[175:176]
	v_fma_f64 v[177:178], v[16:17], s[8:9], -v[177:178]
	;; [unrolled: 1-line block ×4, first 2 shown]
	v_fma_f64 v[235:236], v[16:17], s[28:29], v[34:35]
	v_fma_f64 v[16:17], v[16:17], s[28:29], -v[34:35]
	v_add_f64_e32 v[34:35], v[197:198], v[181:182]
	v_add_f64_e64 v[181:182], v[108:109], -v[100:101]
	v_add_f64_e32 v[183:184], v[199:200], v[183:184]
	v_add_f64_e32 v[197:198], v[160:161], v[158:159]
	;; [unrolled: 1-line block ×7, first 2 shown]
	v_add_f64_e64 v[243:244], v[66:67], -v[52:53]
	v_add_f64_e32 v[245:246], v[68:69], v[146:147]
	v_add_f64_e32 v[8:9], v[8:9], v[118:119]
	;; [unrolled: 1-line block ×7, first 2 shown]
	v_add_f64_e64 v[2:3], v[38:39], -v[102:103]
	v_add_f64_e32 v[34:35], v[201:202], v[34:35]
	v_mul_f64_e32 v[199:200], s[40:41], v[181:182]
	v_mul_f64_e32 v[213:214], s[38:39], v[181:182]
	;; [unrolled: 1-line block ×6, first 2 shown]
	v_add_f64_e32 v[183:184], v[203:204], v[183:184]
	v_add_f64_e32 v[185:186], v[217:218], v[185:186]
	v_mul_f64_e32 v[247:248], s[12:13], v[243:244]
	v_add_f64_e32 v[6:7], v[6:7], v[148:149]
	v_add_f64_e64 v[148:149], v[54:55], -v[56:57]
	v_mul_f64_e32 v[217:218], s[30:31], v[243:244]
	v_add_f64_e32 v[142:143], v[166:167], v[142:143]
	v_add_f64_e32 v[144:145], v[169:170], v[144:145]
	;; [unrolled: 1-line block ×10, first 2 shown]
	v_mul_f64_e32 v[12:13], s[12:13], v[2:3]
	v_mul_f64_e32 v[193:194], s[22:23], v[243:244]
	;; [unrolled: 1-line block ×3, first 2 shown]
	v_add_f64_e32 v[34:35], v[205:206], v[34:35]
	v_fma_f64 v[164:165], v[197:198], s[8:9], v[199:200]
	v_fma_f64 v[32:33], v[197:198], s[14:15], v[213:214]
	;; [unrolled: 1-line block ×4, first 2 shown]
	v_fma_f64 v[179:180], v[197:198], s[20:21], -v[179:180]
	v_fma_f64 v[213:214], v[197:198], s[14:15], -v[213:214]
	;; [unrolled: 1-line block ×4, first 2 shown]
	v_fma_f64 v[233:234], v[197:198], s[28:29], v[162:163]
	v_fma_f64 v[162:163], v[197:198], s[28:29], -v[162:163]
	v_fma_f64 v[237:238], v[197:198], s[34:35], v[181:182]
	v_fma_f64 v[181:182], v[197:198], s[34:35], -v[181:182]
	v_add_f64_e32 v[197:198], v[112:113], v[110:111]
	v_fma_f64 v[249:250], v[245:246], s[14:15], v[247:248]
	v_mul_f64_e32 v[24:25], s[18:19], v[148:149]
	v_fma_f64 v[219:220], v[245:246], s[34:35], v[217:218]
	v_add_f64_e32 v[6:7], v[28:29], v[6:7]
	v_add_f64_e32 v[28:29], v[171:172], v[142:143]
	v_add_f64_e64 v[142:143], v[42:43], -v[40:41]
	v_add_f64_e32 v[171:172], v[60:61], v[96:97]
	v_add_f64_e32 v[18:19], v[138:139], v[18:19]
	;; [unrolled: 1-line block ×6, first 2 shown]
	v_mul_f64_e32 v[173:174], s[44:45], v[243:244]
	v_fma_f64 v[201:202], v[245:246], s[24:25], v[193:194]
	v_add_f64_e32 v[4:5], v[4:5], v[191:192]
	v_add_f64_e32 v[183:184], v[207:208], v[183:184]
	v_mul_f64_e32 v[207:208], s[36:37], v[243:244]
	v_add_f64_e32 v[185:186], v[221:222], v[185:186]
	v_add_f64_e32 v[187:188], v[223:224], v[187:188]
	v_fma_f64 v[193:194], v[245:246], s[24:25], -v[193:194]
	v_add_f64_e32 v[8:9], v[8:9], v[124:125]
	v_add_f64_e32 v[34:35], v[209:210], v[34:35]
	v_fma_f64 v[209:210], v[245:246], s[34:35], -v[217:218]
	v_fma_f64 v[169:170], v[197:198], s[14:15], v[12:13]
	v_fma_f64 v[241:242], v[197:198], s[8:9], v[239:240]
	;; [unrolled: 1-line block ×3, first 2 shown]
	v_fma_f64 v[12:13], v[197:198], s[14:15], -v[12:13]
	v_add_f64_e32 v[6:7], v[195:196], v[6:7]
	v_add_f64_e32 v[28:29], v[175:176], v[28:29]
	v_mul_f64_e32 v[138:139], s[22:23], v[142:143]
	v_mul_f64_e32 v[150:151], s[44:45], v[142:143]
	v_add_f64_e32 v[18:19], v[152:153], v[18:19]
	v_add_f64_e32 v[20:21], v[156:157], v[20:21]
	;; [unrolled: 1-line block ×5, first 2 shown]
	v_fma_f64 v[191:192], v[245:246], s[28:29], v[173:174]
	v_fma_f64 v[173:174], v[245:246], s[28:29], -v[173:174]
	v_add_f64_e32 v[4:5], v[30:31], v[4:5]
	v_add_f64_e32 v[183:184], v[211:212], v[183:184]
	v_fma_f64 v[221:222], v[245:246], s[20:21], v[207:208]
	v_fma_f64 v[207:208], v[245:246], s[20:21], -v[207:208]
	v_add_f64_e32 v[211:212], v[114:115], v[112:113]
	v_add_f64_e32 v[185:186], v[225:226], v[185:186]
	;; [unrolled: 1-line block ×11, first 2 shown]
	v_fma_f64 v[26:27], v[171:172], s[24:25], v[138:139]
	v_fma_f64 v[14:15], v[171:172], s[28:29], v[150:151]
	v_fma_f64 v[150:151], v[171:172], s[28:29], -v[150:151]
	v_fma_f64 v[138:139], v[171:172], s[24:25], -v[138:139]
	v_add_f64_e32 v[144:145], v[215:216], v[144:145]
	v_add_f64_e32 v[18:19], v[199:200], v[18:19]
	v_add_f64_e32 v[20:21], v[162:163], v[20:21]
	v_add_f64_e32 v[0:1], v[181:182], v[0:1]
	v_add_f64_e32 v[10:11], v[237:238], v[10:11]
	v_add_f64_e32 v[4:5], v[229:230], v[4:5]
	v_dual_mov_b32 v214, v253 :: v_dual_mov_b32 v213, v252
	v_add_f64_e32 v[211:212], v[211:212], v[68:69]
	v_add_f64_e32 v[32:33], v[32:33], v[185:186]
	;; [unrolled: 1-line block ×4, first 2 shown]
	v_mul_f64_e32 v[201:202], s[18:19], v[2:3]
	v_add_f64_e32 v[241:242], v[249:250], v[241:242]
	v_add_f64_e32 v[12:13], v[193:194], v[12:13]
	;; [unrolled: 1-line block ×4, first 2 shown]
	v_fma_f64 v[203:204], v[197:198], s[20:21], v[201:202]
	v_add_f64_e32 v[166:167], v[166:167], v[241:242]
	v_fma_f64 v[201:202], v[197:198], s[20:21], -v[201:202]
	v_add_f64_e32 v[211:212], v[211:212], v[60:61]
	v_add_f64_e32 v[8:9], v[8:9], v[126:127]
	;; [unrolled: 1-line block ×4, first 2 shown]
	v_mul_f64_e32 v[166:167], s[22:23], v[2:3]
	v_add_f64_e32 v[201:202], v[114:115], v[201:202]
	v_add_f64_e32 v[211:212], v[211:212], v[62:63]
	;; [unrolled: 1-line block ×4, first 2 shown]
	v_mul_f64_e32 v[219:220], s[30:31], v[148:149]
	v_add_f64_e32 v[201:202], v[209:210], v[201:202]
	v_add_f64_e32 v[211:212], v[211:212], v[90:91]
	;; [unrolled: 1-line block ×3, first 2 shown]
	s_delay_alu instid0(VALU_DEP_4) | instskip(SKIP_1) | instid1(VALU_DEP_4)
	v_fma_f64 v[231:232], v[22:23], s[34:35], v[219:220]
	v_fma_f64 v[219:220], v[22:23], s[34:35], -v[219:220]
	v_add_f64_e32 v[211:212], v[211:212], v[92:93]
	s_delay_alu instid0(VALU_DEP_4) | instskip(NEXT) | instid1(VALU_DEP_4)
	v_add_f64_e32 v[8:9], v[8:9], v[134:135]
	v_add_f64_e32 v[169:170], v[231:232], v[169:170]
	v_mul_f64_e32 v[231:232], s[42:43], v[148:149]
	v_add_f64_e32 v[12:13], v[219:220], v[12:13]
	v_add_f64_e32 v[211:212], v[211:212], v[94:95]
	;; [unrolled: 1-line block ×4, first 2 shown]
	v_fma_f64 v[169:170], v[197:198], s[24:25], v[166:167]
	v_fma_f64 v[241:242], v[22:23], s[24:25], v[231:232]
	v_fma_f64 v[166:167], v[197:198], s[24:25], -v[166:167]
	v_add_f64_e32 v[12:13], v[150:151], v[12:13]
	v_add_f64_e32 v[211:212], v[211:212], v[96:97]
	;; [unrolled: 1-line block ×5, first 2 shown]
	s_delay_alu instid0(VALU_DEP_4) | instskip(NEXT) | instid1(VALU_DEP_4)
	v_add_f64_e32 v[211:212], v[211:212], v[98:99]
	v_add_f64_e32 v[169:170], v[191:192], v[169:170]
	v_mul_f64_e32 v[191:192], s[26:27], v[2:3]
	v_mul_f64_e32 v[2:3], s[30:31], v[2:3]
	v_add_f64_e32 v[166:167], v[173:174], v[166:167]
	v_mul_f64_e32 v[173:174], s[40:41], v[142:143]
	v_add_f64_e32 v[156:157], v[211:212], v[146:147]
	v_fma_f64 v[205:206], v[197:198], s[28:29], v[191:192]
	v_fma_f64 v[191:192], v[197:198], s[28:29], -v[191:192]
	s_delay_alu instid0(VALU_DEP_3) | instskip(NEXT) | instid1(VALU_DEP_3)
	v_add_f64_e32 v[156:157], v[156:157], v[110:111]
	v_add_f64_e32 v[205:206], v[114:115], v[205:206]
	s_delay_alu instid0(VALU_DEP_3) | instskip(NEXT) | instid1(VALU_DEP_2)
	v_add_f64_e32 v[191:192], v[114:115], v[191:192]
	v_add_f64_e32 v[205:206], v[221:222], v[205:206]
	v_mul_f64_e32 v[221:222], s[40:41], v[148:149]
	s_delay_alu instid0(VALU_DEP_3) | instskip(SKIP_1) | instid1(VALU_DEP_3)
	v_add_f64_e32 v[191:192], v[207:208], v[191:192]
	v_fma_f64 v[207:208], v[245:246], s[14:15], -v[247:248]
	v_fma_f64 v[223:224], v[22:23], s[8:9], v[221:222]
	v_fma_f64 v[217:218], v[22:23], s[8:9], -v[221:222]
	s_delay_alu instid0(VALU_DEP_2) | instskip(SKIP_2) | instid1(VALU_DEP_4)
	v_add_f64_e32 v[169:170], v[223:224], v[169:170]
	v_mul_f64_e32 v[223:224], s[12:13], v[148:149]
	v_mul_f64_e32 v[148:149], s[26:27], v[148:149]
	v_add_f64_e32 v[166:167], v[217:218], v[166:167]
	s_delay_alu instid0(VALU_DEP_3) | instskip(NEXT) | instid1(VALU_DEP_3)
	v_fma_f64 v[241:242], v[22:23], s[14:15], v[223:224]
	v_fma_f64 v[209:210], v[22:23], s[28:29], v[148:149]
	v_fma_f64 v[148:149], v[22:23], s[28:29], -v[148:149]
	v_fma_f64 v[221:222], v[22:23], s[14:15], -v[223:224]
	;; [unrolled: 1-line block ×4, first 2 shown]
	v_add_f64_e64 v[24:25], v[46:47], -v[44:45]
	v_add_f64_e32 v[205:206], v[241:242], v[205:206]
	v_mul_f64_e32 v[241:242], s[40:41], v[243:244]
	v_fma_f64 v[243:244], v[197:198], s[34:35], v[2:3]
	v_fma_f64 v[2:3], v[197:198], s[34:35], -v[2:3]
	v_fma_f64 v[197:198], v[197:198], s[8:9], -v[239:240]
	v_add_f64_e32 v[191:192], v[221:222], v[191:192]
	v_mul_f64_e32 v[225:226], s[26:27], v[24:25]
	v_mul_f64_e32 v[217:218], s[36:37], v[24:25]
	;; [unrolled: 1-line block ×3, first 2 shown]
	v_add_f64_e32 v[201:202], v[223:224], v[201:202]
	v_fma_f64 v[249:250], v[245:246], s[8:9], v[241:242]
	v_add_f64_e32 v[243:244], v[114:115], v[243:244]
	v_fma_f64 v[241:242], v[245:246], s[8:9], -v[241:242]
	v_add_f64_e32 v[2:3], v[114:115], v[2:3]
	v_add_f64_e32 v[114:115], v[114:115], v[197:198]
	v_mul_f64_e32 v[197:198], s[18:19], v[142:143]
	v_add_f64_e32 v[243:244], v[249:250], v[243:244]
	s_delay_alu instid0(VALU_DEP_4) | instskip(NEXT) | instid1(VALU_DEP_4)
	v_add_f64_e32 v[2:3], v[241:242], v[2:3]
	v_add_f64_e32 v[114:115], v[207:208], v[114:115]
	s_delay_alu instid0(VALU_DEP_4)
	v_fma_f64 v[193:194], v[171:172], s[20:21], v[197:198]
	v_mul_f64_e32 v[207:208], s[46:47], v[142:143]
	v_mul_f64_e32 v[142:143], s[38:39], v[142:143]
	v_fma_f64 v[241:242], v[171:172], s[8:9], v[173:174]
	v_fma_f64 v[197:198], v[171:172], s[20:21], -v[197:198]
	v_fma_f64 v[173:174], v[171:172], s[8:9], -v[173:174]
	v_add_f64_e32 v[209:210], v[209:210], v[243:244]
	v_add_f64_e32 v[2:3], v[148:149], v[2:3]
	v_add_f64_e64 v[148:149], v[48:49], -v[50:51]
	v_add_f64_e32 v[169:170], v[193:194], v[169:170]
	v_add_f64_e32 v[193:194], v[62:63], v[94:95]
	v_fma_f64 v[219:220], v[171:172], s[34:35], v[207:208]
	v_fma_f64 v[223:224], v[171:172], s[14:15], v[142:143]
	v_fma_f64 v[142:143], v[171:172], s[14:15], -v[142:143]
	v_fma_f64 v[207:208], v[171:172], s[34:35], -v[207:208]
	v_mul_f64_e32 v[171:172], s[46:47], v[24:25]
	v_add_f64_e32 v[22:23], v[22:23], v[114:115]
	v_mul_f64_e32 v[114:115], s[40:41], v[24:25]
	v_mul_f64_e32 v[24:25], s[22:23], v[24:25]
	v_add_f64_e32 v[203:204], v[241:242], v[203:204]
	v_add_f64_e32 v[166:167], v[197:198], v[166:167]
	;; [unrolled: 1-line block ×3, first 2 shown]
	v_mul_f64_e32 v[175:176], s[30:31], v[148:149]
	v_mul_f64_e32 v[197:198], s[26:27], v[148:149]
	v_fma_f64 v[195:196], v[193:194], s[28:29], v[225:226]
	v_add_f64_e32 v[205:206], v[219:220], v[205:206]
	v_fma_f64 v[219:220], v[193:194], s[20:21], v[217:218]
	v_add_f64_e32 v[209:210], v[223:224], v[209:210]
	;; [unrolled: 2-line block ×3, first 2 shown]
	v_mul_f64_e32 v[142:143], s[40:41], v[148:149]
	v_add_f64_e32 v[191:192], v[207:208], v[191:192]
	v_fma_f64 v[207:208], v[193:194], s[34:35], v[171:172]
	v_fma_f64 v[150:151], v[193:194], s[8:9], v[114:115]
	;; [unrolled: 1-line block ×3, first 2 shown]
	v_fma_f64 v[24:25], v[193:194], s[24:25], -v[24:25]
	v_fma_f64 v[171:172], v[193:194], s[34:35], -v[171:172]
	;; [unrolled: 1-line block ×6, first 2 shown]
	v_mul_f64_e32 v[225:226], s[38:39], v[148:149]
	v_add_f64_e32 v[22:23], v[138:139], v[22:23]
	v_mul_f64_e32 v[138:139], s[22:23], v[148:149]
	v_mul_f64_e32 v[148:149], s[36:37], v[148:149]
	v_fma_f64 v[177:178], v[30:31], s[34:35], v[175:176]
	v_add_f64_e32 v[16:17], v[195:196], v[26:27]
	v_fma_f64 v[195:196], v[30:31], s[28:29], v[197:198]
	v_add_f64_e32 v[14:15], v[219:220], v[14:15]
	v_add_f64_e32 v[26:27], v[223:224], v[203:204]
	v_fma_f64 v[152:153], v[30:31], s[8:9], v[142:143]
	v_fma_f64 v[142:143], v[30:31], s[8:9], -v[142:143]
	v_add_f64_e32 v[169:170], v[207:208], v[169:170]
	v_add_f64_e32 v[150:151], v[150:151], v[205:206]
	v_add_f64_e32 v[201:202], v[201:202], v[209:210]
	v_add_f64_e32 v[2:3], v[24:25], v[2:3]
	v_add_f64_e32 v[166:167], v[171:172], v[166:167]
	v_add_f64_e32 v[114:115], v[114:115], v[191:192]
	v_fma_f64 v[191:192], v[30:31], s[28:29], -v[197:198]
	v_add_f64_e32 v[12:13], v[217:218], v[12:13]
	v_add_f64_e32 v[173:174], v[221:222], v[173:174]
	v_fma_f64 v[203:204], v[30:31], s[14:15], v[225:226]
	v_fma_f64 v[171:172], v[30:31], s[14:15], -v[225:226]
	v_fma_f64 v[205:206], v[30:31], s[24:25], v[138:139]
	v_fma_f64 v[24:25], v[30:31], s[20:21], v[148:149]
	v_fma_f64 v[148:149], v[30:31], s[20:21], -v[148:149]
	v_fma_f64 v[138:139], v[30:31], s[24:25], -v[138:139]
	;; [unrolled: 1-line block ×3, first 2 shown]
	v_add_f64_e32 v[22:23], v[193:194], v[22:23]
	scratch_load_b32 v194, off, off offset:12 ; 4-byte Folded Reload
	v_add_f64_e32 v[175:176], v[233:234], v[183:184]
	v_add_f64_e32 v[183:184], v[140:141], v[187:188]
	v_dual_mov_b32 v198, v251 :: v_dual_mov_b32 v197, v254
	v_add_f64_e32 v[16:17], v[177:178], v[16:17]
	v_add_f64_e32 v[26:27], v[195:196], v[26:27]
	v_mov_b32_e32 v196, v104
	v_add_f64_e32 v[14:15], v[152:153], v[14:15]
	v_mov_b32_e32 v195, v105
	v_add_f64_e32 v[152:153], v[203:204], v[169:170]
	v_add_f64_e32 v[150:151], v[205:206], v[150:151]
	v_add_f64_e32 v[24:25], v[24:25], v[201:202]
	v_add_f64_e32 v[2:3], v[148:149], v[2:3]
	v_add_f64_e32 v[148:149], v[171:172], v[166:167]
	v_mov_b32_e32 v172, v189
	scratch_load_b32 v189, off, off offset:68 ; 4-byte Folded Reload
	v_add_f64_e32 v[140:141], v[30:31], v[22:23]
	scratch_load_b32 v22, off, off offset:96 th:TH_LOAD_LU ; 4-byte Folded Reload
	v_add_f64_e32 v[114:115], v[138:139], v[114:115]
	v_add_f64_e32 v[138:139], v[142:143], v[12:13]
	;; [unrolled: 1-line block ×3, first 2 shown]
	s_wait_alu 0xf1ff
	v_cndmask_b32_e64 v23, 0, 0xa90, s1
	v_lshlrev_b32_e32 v30, 3, v155
	v_lshlrev_b32_e32 v31, 3, v154
	global_wb scope:SCOPE_SE
	s_wait_loadcnt 0x0
	s_barrier_signal -1
	s_barrier_wait -1
	v_add3_u32 v164, 0, v23, v30
	global_inv scope:SCOPE_SE
	v_add_nc_u32_e32 v174, 0x800, v164
	v_lshl_add_u32 v178, v194, 3, 0
	v_lshl_add_u32 v173, v189, 3, 0
	v_and_b32_e32 v22, 0xffff, v22
	s_delay_alu instid0(VALU_DEP_1) | instskip(NEXT) | instid1(VALU_DEP_1)
	v_mul_u32_u24_e32 v22, 0xa90, v22
	v_add3_u32 v169, 0, v22, v31
	s_delay_alu instid0(VALU_DEP_1)
	v_add_nc_u32_e32 v170, 0x800, v169
	ds_store_2addr_b64 v164, v[34:35], v[175:176] offset0:52 offset1:78
	ds_store_2addr_b64 v164, v[32:33], v[183:184] offset0:104 offset1:130
	ds_store_2addr_b64 v164, v[4:5], v[6:7] offset0:156 offset1:182
	ds_store_2addr_b64 v164, v[144:145], v[28:29] offset0:208 offset1:234
	ds_store_2addr_b64 v174, v[20:21], v[18:19] offset0:4 offset1:30
	ds_store_b64 v164, v[0:1] offset:2496
	ds_store_2addr_b64 v164, v[8:9], v[10:11] offset1:26
	ds_store_2addr_b64 v169, v[156:157], v[16:17] offset1:26
	ds_store_2addr_b64 v169, v[14:15], v[26:27] offset0:52 offset1:78
	ds_store_2addr_b64 v169, v[152:153], v[150:151] offset0:104 offset1:130
	;; [unrolled: 1-line block ×5, first 2 shown]
	ds_store_b64 v169, v[140:141] offset:2496
	global_wb scope:SCOPE_SE
	s_wait_dscnt 0x0
	s_barrier_signal -1
	s_barrier_wait -1
	global_inv scope:SCOPE_SE
	scratch_load_b32 v0, off, off offset:4 th:TH_LOAD_LU ; 4-byte Folded Reload
	s_wait_loadcnt 0x0
	ds_load_b64 v[142:143], v0
	ds_load_b64 v[199:200], v190
	;; [unrolled: 1-line block ×6, first 2 shown]
	ds_load_2addr_b64 v[16:19], v253 offset0:82 offset1:134
	ds_load_2addr_b64 v[8:11], v254 offset0:164 offset1:216
	;; [unrolled: 1-line block ×9, first 2 shown]
	s_clause 0x1
	scratch_load_b32 v104, off, off offset:36 th:TH_LOAD_LU
	scratch_load_b32 v105, off, off offset:40 th:TH_LOAD_LU
	s_wait_loadcnt 0x1
	v_sub_nc_u32_e32 v104, 0, v104
	s_wait_loadcnt 0x0
	s_delay_alu instid0(VALU_DEP_1)
	v_add_nc_u32_e32 v191, v105, v104
	scratch_load_b32 v104, off, off offset:24 th:TH_LOAD_LU ; 4-byte Folded Reload
	s_wait_loadcnt 0x0
	v_sub_nc_u32_e32 v165, 0, v104
	scratch_load_b32 v104, off, off offset:32 th:TH_LOAD_LU ; 4-byte Folded Reload
	s_wait_loadcnt 0x0
	v_sub_nc_u32_e32 v171, 0, v104
                                        ; implicit-def: $vgpr104_vgpr105
                                        ; kill: killed $vgpr104_vgpr105
                                        ; implicit-def: $vgpr104_vgpr105
                                        ; kill: killed $vgpr104_vgpr105
	s_and_saveexec_b32 s1, s0
	s_cbranch_execz .LBB0_15
; %bb.14:
	ds_load_b64 v[140:141], v195 offset:5200
	ds_load_b64 v[104:105], v195 offset:7904
	s_wait_dscnt 0x0
	scratch_store_b64 off, v[104:105], off offset:4 ; 8-byte Folded Spill
	ds_load_b64 v[138:139], v191
	ds_load_b64 v[104:105], v195 offset:10608
	s_wait_dscnt 0x0
	scratch_store_b64 off, v[104:105], off offset:24 ; 8-byte Folded Spill
.LBB0_15:
	s_wait_alu 0xfffe
	s_or_b32 exec_lo, exec_lo, s1
	v_add_f64_e64 v[114:115], v[118:119], -v[134:135]
	v_add_f64_e64 v[118:119], v[124:125], -v[130:131]
	v_add_f64_e32 v[124:125], v[88:89], v[72:73]
	v_add_f64_e64 v[128:129], v[116:117], -v[128:129]
	v_add_f64_e64 v[120:121], v[120:121], -v[126:127]
	v_add_f64_e32 v[130:131], v[78:79], v[58:59]
	v_add_f64_e64 v[116:117], v[122:123], -v[132:133]
	v_add_f64_e64 v[122:123], v[160:161], -v[158:159]
	global_wb scope:SCOPE_SE
	s_wait_storecnt_dscnt 0x0
	s_barrier_signal -1
	s_barrier_wait -1
	global_inv scope:SCOPE_SE
	v_add_f64_e32 v[88:89], v[36:37], v[88:89]
	v_add_f64_e64 v[68:69], v[68:69], -v[146:147]
	v_add_f64_e64 v[70:71], v[70:71], -v[98:99]
	;; [unrolled: 1-line block ×4, first 2 shown]
	v_mul_f64_e32 v[126:127], s[14:15], v[124:125]
	v_mul_f64_e32 v[132:133], s[24:25], v[130:131]
	;; [unrolled: 1-line block ×3, first 2 shown]
	s_delay_alu instid0(VALU_DEP_3) | instskip(SKIP_1) | instid1(VALU_DEP_4)
	v_fma_f64 v[104:105], v[128:129], s[12:13], v[126:127]
	v_fma_f64 v[126:127], v[128:129], s[38:39], v[126:127]
	;; [unrolled: 1-line block ×3, first 2 shown]
	s_delay_alu instid0(VALU_DEP_4) | instskip(NEXT) | instid1(VALU_DEP_4)
	v_fma_f64 v[158:159], v[114:115], s[30:31], v[152:153]
	v_add_f64_e32 v[104:105], v[36:37], v[104:105]
	s_delay_alu instid0(VALU_DEP_4) | instskip(NEXT) | instid1(VALU_DEP_2)
	v_add_f64_e32 v[126:127], v[36:37], v[126:127]
	v_add_f64_e32 v[104:105], v[134:135], v[104:105]
	v_mul_f64_e32 v[134:135], s[20:21], v[124:125]
	s_delay_alu instid0(VALU_DEP_1) | instskip(SKIP_1) | instid1(VALU_DEP_2)
	v_fma_f64 v[148:149], v[128:129], s[18:19], v[134:135]
	v_fma_f64 v[134:135], v[128:129], s[36:37], v[134:135]
	v_add_f64_e32 v[148:149], v[36:37], v[148:149]
	s_delay_alu instid0(VALU_DEP_2) | instskip(NEXT) | instid1(VALU_DEP_2)
	v_add_f64_e32 v[134:135], v[36:37], v[134:135]
	v_add_f64_e32 v[148:149], v[158:159], v[148:149]
	;; [unrolled: 1-line block ×3, first 2 shown]
	s_delay_alu instid0(VALU_DEP_1) | instskip(NEXT) | instid1(VALU_DEP_1)
	v_mul_f64_e32 v[160:161], s[34:35], v[158:159]
	v_fma_f64 v[162:163], v[116:117], s[30:31], v[160:161]
	s_delay_alu instid0(VALU_DEP_1) | instskip(SKIP_1) | instid1(VALU_DEP_1)
	v_add_f64_e32 v[104:105], v[162:163], v[104:105]
	v_mul_f64_e32 v[162:163], s[24:25], v[158:159]
	v_fma_f64 v[166:167], v[116:117], s[42:43], v[162:163]
	s_delay_alu instid0(VALU_DEP_1) | instskip(SKIP_1) | instid1(VALU_DEP_1)
	v_add_f64_e32 v[148:149], v[166:167], v[148:149]
	v_add_f64_e32 v[166:167], v[84:85], v[76:77]
	v_mul_f64_e32 v[175:176], s[28:29], v[166:167]
	s_delay_alu instid0(VALU_DEP_1) | instskip(NEXT) | instid1(VALU_DEP_1)
	v_fma_f64 v[179:180], v[118:119], s[44:45], v[175:176]
	v_add_f64_e32 v[104:105], v[179:180], v[104:105]
	v_mul_f64_e32 v[179:180], s[8:9], v[166:167]
	s_delay_alu instid0(VALU_DEP_1) | instskip(NEXT) | instid1(VALU_DEP_1)
	v_fma_f64 v[181:182], v[118:119], s[40:41], v[179:180]
	v_add_f64_e32 v[148:149], v[181:182], v[148:149]
	v_add_f64_e32 v[181:182], v[86:87], v[80:81]
	s_delay_alu instid0(VALU_DEP_1) | instskip(NEXT) | instid1(VALU_DEP_1)
	v_mul_f64_e32 v[183:184], s[20:21], v[181:182]
	v_fma_f64 v[185:186], v[120:121], s[36:37], v[183:184]
	s_delay_alu instid0(VALU_DEP_1) | instskip(SKIP_1) | instid1(VALU_DEP_1)
	v_add_f64_e32 v[104:105], v[185:186], v[104:105]
	v_mul_f64_e32 v[185:186], s[14:15], v[181:182]
	v_fma_f64 v[187:188], v[120:121], s[12:13], v[185:186]
	s_delay_alu instid0(VALU_DEP_1) | instskip(SKIP_1) | instid1(VALU_DEP_1)
	v_add_f64_e32 v[148:149], v[187:188], v[148:149]
	v_add_f64_e32 v[187:188], v[108:109], v[100:101]
	v_mul_f64_e32 v[192:193], s[8:9], v[187:188]
	s_delay_alu instid0(VALU_DEP_1) | instskip(NEXT) | instid1(VALU_DEP_1)
	v_fma_f64 v[201:202], v[122:123], s[40:41], v[192:193]
	v_add_f64_e32 v[104:105], v[201:202], v[104:105]
	v_mul_f64_e32 v[201:202], s[28:29], v[187:188]
	s_delay_alu instid0(VALU_DEP_1) | instskip(NEXT) | instid1(VALU_DEP_1)
	v_fma_f64 v[203:204], v[122:123], s[26:27], v[201:202]
	v_add_f64_e32 v[148:149], v[203:204], v[148:149]
	v_mul_f64_e32 v[203:204], s[28:29], v[124:125]
	ds_store_2addr_b64 v174, v[148:149], v[104:105] offset0:4 offset1:30
	v_mul_f64_e32 v[104:105], s[8:9], v[124:125]
	v_mul_f64_e32 v[148:149], s[24:25], v[124:125]
	;; [unrolled: 1-line block ×3, first 2 shown]
	v_fma_f64 v[209:210], v[128:129], s[44:45], v[203:204]
	v_fma_f64 v[203:204], v[128:129], s[26:27], v[203:204]
	;; [unrolled: 1-line block ×8, first 2 shown]
	v_add_f64_e32 v[203:204], v[36:37], v[203:204]
	v_add_f64_e32 v[128:129], v[36:37], v[205:206]
	;; [unrolled: 1-line block ×8, first 2 shown]
	v_fma_f64 v[124:125], v[114:115], s[42:43], v[132:133]
	v_fma_f64 v[132:133], v[116:117], s[46:47], v[160:161]
	s_delay_alu instid0(VALU_DEP_2) | instskip(SKIP_2) | instid1(VALU_DEP_3)
	v_add_f64_e32 v[124:125], v[124:125], v[126:127]
	v_fma_f64 v[126:127], v[114:115], s[46:47], v[152:153]
	v_mul_f64_e32 v[152:153], s[8:9], v[158:159]
	v_add_f64_e32 v[124:125], v[132:133], v[124:125]
	s_delay_alu instid0(VALU_DEP_3) | instskip(SKIP_1) | instid1(VALU_DEP_4)
	v_add_f64_e32 v[126:127], v[126:127], v[134:135]
	v_fma_f64 v[132:133], v[116:117], s[22:23], v[162:163]
	v_fma_f64 v[160:161], v[116:117], s[6:7], v[152:153]
	s_delay_alu instid0(VALU_DEP_2) | instskip(SKIP_1) | instid1(VALU_DEP_1)
	v_add_f64_e32 v[126:127], v[132:133], v[126:127]
	v_fma_f64 v[132:133], v[118:119], s[26:27], v[175:176]
	v_add_f64_e32 v[124:125], v[132:133], v[124:125]
	v_fma_f64 v[132:133], v[118:119], s[6:7], v[179:180]
	s_delay_alu instid0(VALU_DEP_1) | instskip(SKIP_1) | instid1(VALU_DEP_1)
	v_add_f64_e32 v[126:127], v[132:133], v[126:127]
	v_fma_f64 v[132:133], v[120:121], s[18:19], v[183:184]
	v_add_f64_e32 v[124:125], v[132:133], v[124:125]
	v_fma_f64 v[132:133], v[120:121], s[38:39], v[185:186]
	s_delay_alu instid0(VALU_DEP_1) | instskip(SKIP_1) | instid1(VALU_DEP_1)
	v_add_f64_e32 v[126:127], v[132:133], v[126:127]
	v_fma_f64 v[132:133], v[122:123], s[6:7], v[192:193]
	v_add_f64_e32 v[124:125], v[132:133], v[124:125]
	v_fma_f64 v[132:133], v[122:123], s[44:45], v[201:202]
	s_delay_alu instid0(VALU_DEP_1) | instskip(SKIP_4) | instid1(VALU_DEP_2)
	v_add_f64_e32 v[126:127], v[132:133], v[126:127]
	v_mul_f64_e32 v[132:133], s[20:21], v[130:131]
	ds_store_2addr_b64 v164, v[124:125], v[126:127] offset0:52 offset1:78
	v_mul_f64_e32 v[124:125], s[28:29], v[130:131]
	v_fma_f64 v[134:135], v[114:115], s[18:19], v[132:133]
	v_fma_f64 v[126:127], v[114:115], s[26:27], v[124:125]
	s_delay_alu instid0(VALU_DEP_2) | instskip(NEXT) | instid1(VALU_DEP_2)
	v_add_f64_e32 v[134:135], v[134:135], v[207:208]
	v_add_f64_e32 v[126:127], v[126:127], v[205:206]
	s_delay_alu instid0(VALU_DEP_1) | instskip(SKIP_1) | instid1(VALU_DEP_1)
	v_add_f64_e32 v[126:127], v[160:161], v[126:127]
	v_mul_f64_e32 v[160:161], s[14:15], v[158:159]
	v_fma_f64 v[162:163], v[116:117], s[38:39], v[160:161]
	s_delay_alu instid0(VALU_DEP_1) | instskip(SKIP_1) | instid1(VALU_DEP_1)
	v_add_f64_e32 v[134:135], v[162:163], v[134:135]
	v_mul_f64_e32 v[162:163], s[20:21], v[166:167]
	v_fma_f64 v[174:175], v[118:119], s[36:37], v[162:163]
	;; [unrolled: 4-line block ×7, first 2 shown]
	s_delay_alu instid0(VALU_DEP_1) | instskip(SKIP_2) | instid1(VALU_DEP_1)
	v_add_f64_e32 v[134:135], v[192:193], v[134:135]
	ds_store_2addr_b64 v164, v[126:127], v[134:135] offset0:104 offset1:130
	v_mul_f64_e32 v[126:127], s[8:9], v[130:131]
	v_fma_f64 v[134:135], v[114:115], s[6:7], v[126:127]
	v_fma_f64 v[126:127], v[114:115], s[40:41], v[126:127]
	s_delay_alu instid0(VALU_DEP_2) | instskip(NEXT) | instid1(VALU_DEP_2)
	v_add_f64_e32 v[134:135], v[134:135], v[209:210]
	v_add_f64_e32 v[36:37], v[126:127], v[36:37]
	v_mul_f64_e32 v[126:127], s[28:29], v[158:159]
	s_delay_alu instid0(VALU_DEP_1) | instskip(SKIP_1) | instid1(VALU_DEP_2)
	v_fma_f64 v[192:193], v[116:117], s[44:45], v[126:127]
	v_fma_f64 v[126:127], v[116:117], s[26:27], v[126:127]
	v_add_f64_e32 v[134:135], v[192:193], v[134:135]
	s_delay_alu instid0(VALU_DEP_2) | instskip(SKIP_1) | instid1(VALU_DEP_1)
	v_add_f64_e32 v[36:37], v[126:127], v[36:37]
	v_mul_f64_e32 v[126:127], s[14:15], v[166:167]
	v_fma_f64 v[192:193], v[118:119], s[12:13], v[126:127]
	v_fma_f64 v[126:127], v[118:119], s[38:39], v[126:127]
	s_delay_alu instid0(VALU_DEP_2) | instskip(NEXT) | instid1(VALU_DEP_2)
	v_add_f64_e32 v[134:135], v[192:193], v[134:135]
	v_add_f64_e32 v[36:37], v[126:127], v[36:37]
	v_mul_f64_e32 v[126:127], s[24:25], v[181:182]
	s_delay_alu instid0(VALU_DEP_1) | instskip(SKIP_1) | instid1(VALU_DEP_2)
	v_fma_f64 v[192:193], v[120:121], s[42:43], v[126:127]
	v_fma_f64 v[126:127], v[120:121], s[22:23], v[126:127]
	v_add_f64_e32 v[134:135], v[192:193], v[134:135]
	s_delay_alu instid0(VALU_DEP_2) | instskip(SKIP_1) | instid1(VALU_DEP_1)
	v_add_f64_e32 v[36:37], v[126:127], v[36:37]
	v_mul_f64_e32 v[126:127], s[20:21], v[187:188]
	v_fma_f64 v[192:193], v[122:123], s[18:19], v[126:127]
	v_fma_f64 v[126:127], v[122:123], s[36:37], v[126:127]
	s_delay_alu instid0(VALU_DEP_2) | instskip(NEXT) | instid1(VALU_DEP_2)
	v_add_f64_e32 v[134:135], v[192:193], v[134:135]
	v_add_f64_e32 v[36:37], v[126:127], v[36:37]
	v_fma_f64 v[126:127], v[116:117], s[40:41], v[152:153]
	ds_store_2addr_b64 v164, v[134:135], v[36:37] offset0:156 offset1:182
	v_fma_f64 v[36:37], v[114:115], s[44:45], v[124:125]
	v_fma_f64 v[124:125], v[114:115], s[36:37], v[132:133]
	s_delay_alu instid0(VALU_DEP_2) | instskip(NEXT) | instid1(VALU_DEP_2)
	v_add_f64_e32 v[36:37], v[36:37], v[148:149]
	v_add_f64_e32 v[124:125], v[124:125], v[203:204]
	s_delay_alu instid0(VALU_DEP_2) | instskip(SKIP_1) | instid1(VALU_DEP_1)
	v_add_f64_e32 v[36:37], v[126:127], v[36:37]
	v_fma_f64 v[126:127], v[116:117], s[12:13], v[160:161]
	v_add_f64_e32 v[124:125], v[126:127], v[124:125]
	v_fma_f64 v[126:127], v[118:119], s[18:19], v[162:163]
	s_delay_alu instid0(VALU_DEP_1) | instskip(SKIP_1) | instid1(VALU_DEP_1)
	v_add_f64_e32 v[36:37], v[126:127], v[36:37]
	v_fma_f64 v[126:127], v[118:119], s[46:47], v[174:175]
	v_add_f64_e32 v[124:125], v[126:127], v[124:125]
	v_fma_f64 v[126:127], v[120:121], s[46:47], v[176:177]
	s_delay_alu instid0(VALU_DEP_1) | instskip(SKIP_1) | instid1(VALU_DEP_1)
	v_add_f64_e32 v[36:37], v[126:127], v[36:37]
	v_fma_f64 v[126:127], v[120:121], s[40:41], v[179:180]
	v_add_f64_e32 v[124:125], v[126:127], v[124:125]
	v_fma_f64 v[126:127], v[122:123], s[38:39], v[183:184]
	s_delay_alu instid0(VALU_DEP_1) | instskip(SKIP_1) | instid1(VALU_DEP_1)
	v_add_f64_e32 v[36:37], v[126:127], v[36:37]
	v_fma_f64 v[126:127], v[122:123], s[22:23], v[185:186]
	v_add_f64_e32 v[124:125], v[126:127], v[124:125]
	ds_store_2addr_b64 v164, v[124:125], v[36:37] offset0:208 offset1:234
	v_add_f64_e32 v[36:37], v[88:89], v[78:79]
	v_mul_f64_e32 v[78:79], s[14:15], v[130:131]
	s_delay_alu instid0(VALU_DEP_2) | instskip(NEXT) | instid1(VALU_DEP_2)
	v_add_f64_e32 v[36:37], v[36:37], v[82:83]
	v_fma_f64 v[82:83], v[114:115], s[38:39], v[78:79]
	v_fma_f64 v[78:79], v[114:115], s[12:13], v[78:79]
	s_delay_alu instid0(VALU_DEP_3) | instskip(NEXT) | instid1(VALU_DEP_3)
	v_add_f64_e32 v[36:37], v[36:37], v[84:85]
	v_add_f64_e32 v[82:83], v[82:83], v[128:129]
	s_delay_alu instid0(VALU_DEP_2) | instskip(NEXT) | instid1(VALU_DEP_1)
	v_add_f64_e32 v[36:37], v[36:37], v[86:87]
	v_add_f64_e32 v[36:37], v[36:37], v[108:109]
	s_delay_alu instid0(VALU_DEP_1) | instskip(NEXT) | instid1(VALU_DEP_1)
	v_add_f64_e32 v[36:37], v[36:37], v[100:101]
	v_add_f64_e32 v[36:37], v[36:37], v[80:81]
	v_mul_f64_e32 v[80:81], s[20:21], v[158:159]
	s_delay_alu instid0(VALU_DEP_2) | instskip(NEXT) | instid1(VALU_DEP_2)
	v_add_f64_e32 v[36:37], v[36:37], v[76:77]
	v_fma_f64 v[84:85], v[116:117], s[36:37], v[80:81]
	v_mul_f64_e32 v[76:77], s[24:25], v[166:167]
	v_fma_f64 v[80:81], v[116:117], s[18:19], v[80:81]
	s_delay_alu instid0(VALU_DEP_4) | instskip(NEXT) | instid1(VALU_DEP_4)
	v_add_f64_e32 v[36:37], v[36:37], v[74:75]
	v_add_f64_e32 v[82:83], v[84:85], v[82:83]
	s_delay_alu instid0(VALU_DEP_4)
	v_fma_f64 v[84:85], v[118:119], s[42:43], v[76:77]
	v_mul_f64_e32 v[74:75], s[28:29], v[181:182]
	v_fma_f64 v[76:77], v[118:119], s[22:23], v[76:77]
	v_add_f64_e32 v[36:37], v[36:37], v[58:59]
	v_mul_f64_e32 v[58:59], s[34:35], v[187:188]
	v_add_f64_e32 v[82:83], v[84:85], v[82:83]
	v_fma_f64 v[84:85], v[120:121], s[44:45], v[74:75]
	v_fma_f64 v[74:75], v[120:121], s[26:27], v[74:75]
	v_add_f64_e32 v[36:37], v[36:37], v[72:73]
	v_add_f64_e64 v[72:73], v[90:91], -v[92:93]
	s_delay_alu instid0(VALU_DEP_4) | instskip(SKIP_2) | instid1(VALU_DEP_2)
	v_add_f64_e32 v[82:83], v[84:85], v[82:83]
	v_fma_f64 v[84:85], v[122:123], s[46:47], v[58:59]
	v_fma_f64 v[58:59], v[122:123], s[30:31], v[58:59]
	v_add_f64_e32 v[82:83], v[84:85], v[82:83]
	ds_store_2addr_b64 v164, v[36:37], v[82:83] offset1:26
	v_add_f64_e32 v[82:83], v[38:39], v[102:103]
	v_add_f64_e32 v[38:39], v[64:65], v[38:39]
	v_add_f64_e64 v[36:37], v[112:113], -v[110:111]
	s_delay_alu instid0(VALU_DEP_3) | instskip(NEXT) | instid1(VALU_DEP_3)
	v_mul_f64_e32 v[84:85], s[8:9], v[82:83]
	v_add_f64_e32 v[38:39], v[38:39], v[66:67]
	v_mul_f64_e32 v[86:87], s[14:15], v[82:83]
	v_mul_f64_e32 v[88:89], s[20:21], v[82:83]
	v_mul_f64_e32 v[90:91], s[24:25], v[82:83]
	v_mul_f64_e32 v[92:93], s[28:29], v[82:83]
	v_mul_f64_e32 v[82:83], s[34:35], v[82:83]
	v_add_f64_e32 v[66:67], v[66:67], v[52:53]
	v_fma_f64 v[94:95], v[36:37], s[40:41], v[84:85]
	v_add_f64_e32 v[38:39], v[38:39], v[54:55]
	v_fma_f64 v[84:85], v[36:37], s[6:7], v[84:85]
	v_fma_f64 v[96:97], v[36:37], s[38:39], v[86:87]
	;; [unrolled: 1-line block ×11, first 2 shown]
	v_mul_f64_e32 v[82:83], s[14:15], v[66:67]
	v_mul_f64_e32 v[112:113], s[24:25], v[66:67]
	;; [unrolled: 1-line block ×6, first 2 shown]
	v_add_f64_e32 v[38:39], v[38:39], v[42:43]
	v_add_f64_e32 v[84:85], v[64:65], v[84:85]
	;; [unrolled: 1-line block ×8, first 2 shown]
	v_fma_f64 v[120:121], v[68:69], s[38:39], v[82:83]
	v_fma_f64 v[82:83], v[68:69], s[12:13], v[82:83]
	;; [unrolled: 1-line block ×12, first 2 shown]
	v_add_f64_e32 v[68:69], v[64:65], v[94:95]
	v_add_f64_e32 v[94:95], v[64:65], v[96:97]
	;; [unrolled: 1-line block ×9, first 2 shown]
	v_mul_f64_e32 v[84:85], s[28:29], v[42:43]
	v_add_f64_e32 v[86:87], v[112:113], v[86:87]
	v_add_f64_e32 v[88:89], v[114:115], v[88:89]
	;; [unrolled: 1-line block ×5, first 2 shown]
	v_mul_f64_e32 v[92:93], s[8:9], v[42:43]
	v_add_f64_e32 v[68:69], v[120:121], v[68:69]
	v_add_f64_e32 v[38:39], v[38:39], v[48:49]
	;; [unrolled: 1-line block ×3, first 2 shown]
	v_fma_f64 v[114:115], v[60:61], s[26:27], v[84:85]
	v_fma_f64 v[84:85], v[60:61], s[44:45], v[84:85]
	;; [unrolled: 1-line block ×4, first 2 shown]
	v_add_f64_e32 v[38:39], v[38:39], v[50:51]
	v_add_f64_e32 v[50:51], v[54:55], v[56:57]
	s_delay_alu instid0(VALU_DEP_2) | instskip(NEXT) | instid1(VALU_DEP_2)
	v_add_f64_e32 v[38:39], v[38:39], v[44:45]
	v_mul_f64_e32 v[54:55], s[20:21], v[50:51]
	v_mul_f64_e32 v[64:65], s[34:35], v[50:51]
	;; [unrolled: 1-line block ×7, first 2 shown]
	v_add_f64_e32 v[38:39], v[38:39], v[40:41]
	v_fma_f64 v[146:147], v[70:71], s[36:37], v[54:55]
	v_fma_f64 v[54:55], v[70:71], s[18:19], v[54:55]
	;; [unrolled: 1-line block ×12, first 2 shown]
	v_add_f64_e32 v[70:71], v[78:79], v[104:105]
	v_add_f64_e32 v[78:79], v[122:123], v[94:95]
	;; [unrolled: 1-line block ×6, first 2 shown]
	v_mul_f64_e32 v[104:105], s[20:21], v[42:43]
	v_mul_f64_e32 v[108:109], s[34:35], v[42:43]
	;; [unrolled: 1-line block ×3, first 2 shown]
	v_fma_f64 v[112:113], v[60:61], s[42:43], v[44:45]
	v_fma_f64 v[44:45], v[60:61], s[22:23], v[44:45]
	v_mul_f64_e32 v[40:41], s[28:29], v[46:47]
	v_add_f64_e32 v[38:39], v[38:39], v[56:57]
	v_add_f64_e32 v[68:69], v[146:147], v[68:69]
	;; [unrolled: 1-line block ×3, first 2 shown]
	v_mul_f64_e32 v[82:83], s[20:21], v[46:47]
	v_add_f64_e32 v[64:65], v[64:65], v[86:87]
	v_mul_f64_e32 v[56:57], s[8:9], v[48:49]
	v_add_f64_e32 v[86:87], v[132:133], v[90:91]
	v_add_f64_e32 v[36:37], v[50:51], v[36:37]
	;; [unrolled: 1-line block ×4, first 2 shown]
	v_mul_f64_e32 v[88:89], s[14:15], v[46:47]
	v_add_f64_e32 v[90:91], v[160:161], v[98:99]
	v_mul_f64_e32 v[98:99], s[8:9], v[46:47]
	v_fma_f64 v[118:119], v[60:61], s[36:37], v[104:105]
	v_fma_f64 v[104:105], v[60:61], s[18:19], v[104:105]
	v_fma_f64 v[120:121], v[60:61], s[30:31], v[108:109]
	v_fma_f64 v[108:109], v[60:61], s[46:47], v[108:109]
	v_fma_f64 v[122:123], v[60:61], s[12:13], v[42:43]
	v_fma_f64 v[42:43], v[60:61], s[38:39], v[42:43]
	v_add_f64_e32 v[60:61], v[80:81], v[70:71]
	v_add_f64_e32 v[70:71], v[148:149], v[78:79]
	;; [unrolled: 1-line block ×4, first 2 shown]
	v_fma_f64 v[100:101], v[62:63], s[44:45], v[40:41]
	v_fma_f64 v[40:41], v[62:63], s[26:27], v[40:41]
	v_add_f64_e32 v[80:81], v[158:159], v[96:97]
	v_mul_f64_e32 v[96:97], s[34:35], v[46:47]
	v_mul_f64_e32 v[46:47], s[24:25], v[46:47]
                                        ; implicit-def: $vgpr162_vgpr163
	v_add_f64_e32 v[38:39], v[38:39], v[52:53]
	v_add_f64_e32 v[44:45], v[44:45], v[54:55]
	v_mul_f64_e32 v[54:55], s[34:35], v[48:49]
	v_fma_f64 v[110:111], v[62:63], s[18:19], v[82:83]
	v_fma_f64 v[82:83], v[62:63], s[36:37], v[82:83]
	v_add_f64_e32 v[64:65], v[84:85], v[64:65]
	v_fma_f64 v[124:125], v[62:63], s[38:39], v[88:89]
	v_fma_f64 v[88:89], v[62:63], s[12:13], v[88:89]
	;; [unrolled: 1-line block ×4, first 2 shown]
	v_add_f64_e32 v[36:37], v[42:43], v[36:37]
	v_add_f64_e32 v[42:43], v[108:109], v[50:51]
	;; [unrolled: 1-line block ×4, first 2 shown]
	v_mul_f64_e32 v[66:67], s[28:29], v[48:49]
	v_add_f64_e32 v[84:85], v[122:123], v[94:95]
	v_fma_f64 v[94:95], v[72:73], s[6:7], v[56:57]
	v_add_f64_e32 v[76:77], v[118:119], v[80:81]
	v_fma_f64 v[126:127], v[62:63], s[30:31], v[96:97]
	v_fma_f64 v[96:97], v[62:63], s[46:47], v[96:97]
	;; [unrolled: 1-line block ×4, first 2 shown]
	v_add_f64_e32 v[62:63], v[112:113], v[68:69]
	v_add_f64_e32 v[68:69], v[114:115], v[70:71]
	;; [unrolled: 1-line block ×5, first 2 shown]
	v_fma_f64 v[92:93], v[72:73], s[46:47], v[54:55]
	v_fma_f64 v[54:55], v[72:73], s[30:31], v[54:55]
	v_add_f64_e32 v[80:81], v[120:121], v[90:91]
	v_mul_f64_e32 v[86:87], s[14:15], v[48:49]
	v_mul_f64_e32 v[90:91], s[24:25], v[48:49]
	;; [unrolled: 1-line block ×3, first 2 shown]
	v_fma_f64 v[56:57], v[72:73], s[40:41], v[56:57]
	v_add_f64_e32 v[64:65], v[82:83], v[64:65]
	v_add_f64_e32 v[38:39], v[38:39], v[102:103]
	;; [unrolled: 1-line block ×4, first 2 shown]
	v_fma_f64 v[104:105], v[72:73], s[44:45], v[66:67]
	v_fma_f64 v[66:67], v[72:73], s[26:27], v[66:67]
	v_add_f64_e32 v[36:37], v[46:47], v[36:37]
	v_add_f64_e32 v[62:63], v[100:101], v[62:63]
	;; [unrolled: 1-line block ×7, first 2 shown]
	s_clause 0x1
	scratch_load_b32 v40, off, off offset:16 th:TH_LOAD_LU
	scratch_load_b32 v41, off, off offset:20 th:TH_LOAD_LU
	v_fma_f64 v[108:109], v[72:73], s[12:13], v[86:87]
	v_fma_f64 v[86:87], v[72:73], s[38:39], v[86:87]
	v_fma_f64 v[112:113], v[72:73], s[42:43], v[90:91]
	v_fma_f64 v[90:91], v[72:73], s[22:23], v[90:91]
	v_fma_f64 v[114:115], v[72:73], s[18:19], v[48:49]
	v_fma_f64 v[48:49], v[72:73], s[36:37], v[48:49]
	v_add_f64_e32 v[72:73], v[126:127], v[76:77]
	v_add_f64_e32 v[52:53], v[128:129], v[80:81]
	;; [unrolled: 1-line block ×15, first 2 shown]
	s_wait_loadcnt 0x1
	v_add_nc_u32_e32 v40, v40, v165
	s_wait_loadcnt 0x0
	v_add_nc_u32_e32 v41, v41, v171
	ds_store_b64 v164, v[44:45] offset:2496
                                        ; implicit-def: $vgpr164_vgpr165
	ds_store_2addr_b64 v169, v[38:39], v[50:51] offset1:26
	ds_store_2addr_b64 v169, v[58:59], v[56:57] offset0:52 offset1:78
	ds_store_2addr_b64 v169, v[60:61], v[52:53] offset0:104 offset1:130
	;; [unrolled: 1-line block ×5, first 2 shown]
	ds_store_b64 v169, v[160:161] offset:2496
	global_wb scope:SCOPE_SE
	s_wait_dscnt 0x0
	s_barrier_signal -1
	s_barrier_wait -1
	global_inv scope:SCOPE_SE
	ds_load_2addr_b64 v[36:39], v214 offset0:82 offset1:134
	ds_load_2addr_b64 v[56:59], v197 offset0:164 offset1:216
	;; [unrolled: 1-line block ×3, first 2 shown]
	ds_load_b64 v[170:171], v40
	ds_load_b64 v[152:153], v41
	;; [unrolled: 1-line block ×6, first 2 shown]
	ds_load_2addr_b64 v[40:43], v214 offset0:186 offset1:238
	ds_load_2addr_b64 v[64:67], v197 offset0:34 offset1:86
	;; [unrolled: 1-line block ×6, first 2 shown]
	s_and_saveexec_b32 s1, s0
	s_cbranch_execz .LBB0_17
; %bb.16:
	ds_load_b64 v[160:161], v195 offset:5200
	ds_load_b64 v[162:163], v195 offset:7904
	ds_load_b64 v[158:159], v191
	ds_load_b64 v[164:165], v195 offset:10608
	scratch_load_b32 v72, off, off offset:380 th:TH_LOAD_LU ; 4-byte Folded Reload
	s_wait_loadcnt 0x0
	scratch_store_b32 off, v72, off offset:100 ; 4-byte Folded Spill
.LBB0_17:
	s_wait_alu 0xfffe
	s_or_b32 exec_lo, exec_lo, s1
	s_and_saveexec_b32 s0, vcc_lo
	s_cbranch_execz .LBB0_20
; %bb.18:
	scratch_load_b32 v76, off, off offset:376 th:TH_LOAD_LU ; 4-byte Folded Reload
	v_mul_i32_i24_e32 v166, 3, v194
	v_mov_b32_e32 v167, 0
	v_mul_lo_u32 v74, s3, v106
	v_mul_lo_u32 v75, s2, v107
	v_mad_co_u64_u32 v[180:181], null, s2, v106, 0
	s_delay_alu instid0(VALU_DEP_4) | instskip(SKIP_2) | instid1(VALU_DEP_4)
	v_lshlrev_b64_e32 v[72:73], 4, v[166:167]
	v_mul_u32_u24_e32 v119, 3, v255
	v_lshlrev_b64_e32 v[136:137], 4, v[136:137]
	v_add3_u32 v181, v181, v75, v74
	s_wait_loadcnt 0x0
	v_mul_i32_i24_e32 v166, 3, v76
	v_add_co_u32 v76, vcc_lo, s4, v72
	s_wait_alu 0xfffd
	v_add_co_ci_u32_e32 v77, vcc_lo, s5, v73, vcc_lo
	scratch_load_b32 v73, off, off offset:372 th:TH_LOAD_LU ; 4-byte Folded Reload
	v_mul_hi_u32 v72, 0x60f25deb, v255
	s_delay_alu instid0(VALU_DEP_1) | instskip(NEXT) | instid1(VALU_DEP_1)
	v_lshrrev_b32_e32 v84, 7, v72
	v_mul_u32_u24_e32 v84, 0x152, v84
	s_delay_alu instid0(VALU_DEP_1) | instskip(NEXT) | instid1(VALU_DEP_1)
	v_sub_nc_u32_e32 v184, v255, v84
	v_mad_co_u64_u32 v[182:183], null, s16, v184, 0
	v_add_nc_u32_e32 v187, 0x2a4, v184
	v_add_nc_u32_e32 v192, 0x3f6, v184
	s_delay_alu instid0(VALU_DEP_3) | instskip(SKIP_2) | instid1(VALU_DEP_4)
	v_mov_b32_e32 v118, v183
	v_lshlrev_b64_e32 v[74:75], 4, v[166:167]
	v_mul_i32_i24_e32 v166, 3, v189
	v_mad_co_u64_u32 v[201:202], null, s16, v192, 0
	s_delay_alu instid0(VALU_DEP_4) | instskip(NEXT) | instid1(VALU_DEP_3)
	v_mad_co_u64_u32 v[148:149], null, s17, v184, v[118:119]
	v_lshlrev_b64_e32 v[80:81], 4, v[166:167]
	v_add_co_u32 v78, vcc_lo, s4, v74
	s_wait_alu 0xfffd
	v_add_co_ci_u32_e32 v79, vcc_lo, s5, v75, vcc_lo
	s_delay_alu instid0(VALU_DEP_3)
	v_add_co_u32 v112, vcc_lo, s4, v80
	s_wait_alu 0xfffd
	v_add_co_ci_u32_e32 v113, vcc_lo, s5, v81, vcc_lo
	v_mov_b32_e32 v183, v148
	s_wait_loadcnt 0x0
	v_mul_i32_i24_e32 v166, 3, v73
	s_clause 0x3
	global_load_b128 v[108:111], v[76:77], off offset:5392
	global_load_b128 v[96:99], v[76:77], off offset:5376
	;; [unrolled: 1-line block ×4, first 2 shown]
	v_lshlrev_b64_e32 v[82:83], 4, v[166:167]
	v_mul_i32_i24_e32 v166, 3, v168
	s_delay_alu instid0(VALU_DEP_1) | instskip(SKIP_1) | instid1(VALU_DEP_4)
	v_lshlrev_b64_e32 v[114:115], 4, v[166:167]
	v_add_nc_u32_e32 v166, 52, v255
	v_add_co_u32 v116, vcc_lo, s4, v82
	s_wait_alu 0xfffd
	v_add_co_ci_u32_e32 v117, vcc_lo, s5, v83, vcc_lo
	s_delay_alu instid0(VALU_DEP_3)
	v_mul_hi_u32 v149, 0x60f25deb, v166
	v_add_co_u32 v146, vcc_lo, s4, v114
	s_wait_alu 0xfffd
	v_add_co_ci_u32_e32 v147, vcc_lo, s5, v115, vcc_lo
	s_clause 0x5
	global_load_b128 v[92:95], v[76:77], off offset:5408
	global_load_b128 v[100:103], v[78:79], off offset:5376
	;; [unrolled: 1-line block ×6, first 2 shown]
	v_lshrrev_b32_e32 v186, 7, v149
	v_lshlrev_b64_e32 v[148:149], 4, v[180:181]
	s_delay_alu instid0(VALU_DEP_2) | instskip(NEXT) | instid1(VALU_DEP_2)
	v_mul_u32_u24_e32 v180, 0x152, v186
	v_add_co_u32 v188, vcc_lo, s10, v148
	s_wait_alu 0xfffd
	s_delay_alu instid0(VALU_DEP_3) | instskip(NEXT) | instid1(VALU_DEP_3)
	v_add_co_ci_u32_e32 v191, vcc_lo, s11, v149, vcc_lo
	v_sub_nc_u32_e32 v166, v166, v180
	v_mad_co_u64_u32 v[148:149], null, s16, v187, 0
	v_add_co_u32 v136, vcc_lo, v188, v136
	s_delay_alu instid0(VALU_DEP_3) | instskip(SKIP_3) | instid1(VALU_DEP_3)
	v_mad_u32_u24 v193, 0x548, v186, v166
	s_wait_alu 0xfffd
	v_add_co_ci_u32_e32 v137, vcc_lo, v191, v137, vcc_lo
	v_add_nc_u32_e32 v191, 0x9c, v255
	v_mad_co_u64_u32 v[203:204], null, s16, v193, 0
	v_add_nc_u32_e32 v185, 0x152, v184
	v_add_nc_u32_e32 v188, 0x3f6, v193
	s_delay_alu instid0(VALU_DEP_2) | instskip(SKIP_1) | instid1(VALU_DEP_3)
	v_mad_co_u64_u32 v[168:169], null, s16, v185, 0
	v_lshlrev_b32_e32 v189, 4, v119
	v_mad_co_u64_u32 v[209:210], null, s16, v188, 0
	s_delay_alu instid0(VALU_DEP_3)
	v_mov_b32_e32 v166, v169
	s_clause 0x5
	global_load_b128 v[112:115], v[112:113], off offset:5408
	global_load_b128 v[116:119], v[116:117], off offset:5376
	;; [unrolled: 1-line block ×4, first 2 shown]
	global_load_b128 v[128:131], v189, s[4:5] offset:5408
	global_load_b128 v[132:135], v189, s[4:5] offset:5392
	v_mad_co_u64_u32 v[180:181], null, s17, v185, v[166:167]
	v_mad_co_u64_u32 v[184:185], null, s17, v187, v[149:150]
	v_dual_mov_b32 v149, v202 :: v_dual_mov_b32 v166, v204
	v_add_nc_u32_e32 v194, 0x152, v193
	s_delay_alu instid0(VALU_DEP_2) | instskip(NEXT) | instid1(VALU_DEP_3)
	v_mad_co_u64_u32 v[185:186], null, s17, v192, v[149:150]
	v_mad_co_u64_u32 v[186:187], null, s17, v193, v[166:167]
	v_add_nc_u32_e32 v181, 0x68, v255
	s_delay_alu instid0(VALU_DEP_3) | instskip(NEXT) | instid1(VALU_DEP_3)
	v_dual_mov_b32 v149, v184 :: v_dual_mov_b32 v202, v185
	v_mov_b32_e32 v204, v186
	v_add_nc_u32_e32 v186, 0x2a4, v193
	s_delay_alu instid0(VALU_DEP_4) | instskip(NEXT) | instid1(VALU_DEP_2)
	v_mul_hi_u32 v169, 0x60f25deb, v181
	v_mad_co_u64_u32 v[207:208], null, s16, v186, 0
	s_delay_alu instid0(VALU_DEP_2) | instskip(SKIP_2) | instid1(VALU_DEP_3)
	v_lshrrev_b32_e32 v187, 7, v169
	v_mov_b32_e32 v169, v180
	v_mad_co_u64_u32 v[205:206], null, s16, v194, 0
	v_mul_u32_u24_e32 v180, 0x152, v187
	s_delay_alu instid0(VALU_DEP_3) | instskip(NEXT) | instid1(VALU_DEP_2)
	v_lshlrev_b64_e32 v[168:169], 4, v[168:169]
	v_sub_nc_u32_e32 v180, v181, v180
	s_delay_alu instid0(VALU_DEP_4) | instskip(SKIP_1) | instid1(VALU_DEP_4)
	v_mov_b32_e32 v166, v206
	v_mul_hi_u32 v181, 0x60f25deb, v191
	v_add_co_u32 v168, s0, v136, v168
	s_delay_alu instid0(VALU_DEP_4) | instskip(NEXT) | instid1(VALU_DEP_4)
	v_mad_u32_u24 v187, 0x548, v187, v180
	v_mad_co_u64_u32 v[184:185], null, s17, v194, v[166:167]
	v_mov_b32_e32 v166, v208
	v_mov_b32_e32 v180, v210
	s_delay_alu instid0(VALU_DEP_4) | instskip(SKIP_1) | instid1(VALU_DEP_4)
	v_mad_co_u64_u32 v[211:212], null, s16, v187, 0
	v_add_nc_u32_e32 v185, 0x152, v187
	v_mad_co_u64_u32 v[213:214], null, s17, v186, v[166:167]
	v_lshrrev_b32_e32 v186, 7, v181
	v_mad_co_u64_u32 v[214:215], null, s17, v188, v[180:181]
	v_mov_b32_e32 v166, v212
	v_mad_co_u64_u32 v[215:216], null, s16, v185, 0
	s_delay_alu instid0(VALU_DEP_4) | instskip(SKIP_1) | instid1(VALU_DEP_4)
	v_mul_u32_u24_e32 v188, 0x152, v186
	v_mov_b32_e32 v206, v184
	v_mad_co_u64_u32 v[180:181], null, s17, v187, v[166:167]
	v_mov_b32_e32 v208, v213
	s_delay_alu instid0(VALU_DEP_4) | instskip(SKIP_3) | instid1(VALU_DEP_3)
	v_sub_nc_u32_e32 v181, v191, v188
	v_mov_b32_e32 v210, v214
	s_wait_alu 0xf1fe
	v_add_co_ci_u32_e64 v169, s0, v137, v169, s0
	v_mad_u32_u24 v186, 0x548, v186, v181
	s_delay_alu instid0(VALU_DEP_1) | instskip(NEXT) | instid1(VALU_DEP_1)
	v_dual_mov_b32 v166, v216 :: v_dual_add_nc_u32 v191, 0x2a4, v186
	v_mad_co_u64_u32 v[221:222], null, s17, v185, v[166:167]
	v_add_nc_u32_e32 v185, 0xd0, v255
	v_mad_co_u64_u32 v[222:223], null, s16, v186, 0
	s_delay_alu instid0(VALU_DEP_4) | instskip(SKIP_4) | instid1(VALU_DEP_4)
	v_mad_co_u64_u32 v[228:229], null, s16, v191, 0
	v_add_nc_u32_e32 v192, 0x2a4, v187
	v_add_nc_u32_e32 v187, 0x3f6, v187
	v_mul_hi_u32 v188, 0x60f25deb, v185
	v_mov_b32_e32 v216, v221
	v_mad_co_u64_u32 v[217:218], null, s16, v192, 0
	s_delay_alu instid0(VALU_DEP_4) | instskip(NEXT) | instid1(VALU_DEP_4)
	v_mad_co_u64_u32 v[219:220], null, s16, v187, 0
	v_lshrrev_b32_e32 v188, 7, v188
	s_delay_alu instid0(VALU_DEP_2) | instskip(NEXT) | instid1(VALU_DEP_1)
	v_dual_mov_b32 v166, v218 :: v_dual_mov_b32 v181, v220
	v_mad_co_u64_u32 v[224:225], null, s17, v192, v[166:167]
	s_delay_alu instid0(VALU_DEP_2) | instskip(SKIP_2) | instid1(VALU_DEP_4)
	v_mad_co_u64_u32 v[225:226], null, s17, v187, v[181:182]
	v_dual_mov_b32 v166, v223 :: v_dual_add_nc_u32 v187, 0x152, v186
	v_mul_u32_u24_e32 v181, 0x152, v188
	v_mov_b32_e32 v218, v224
	s_delay_alu instid0(VALU_DEP_3) | instskip(NEXT) | instid1(VALU_DEP_4)
	v_mad_co_u64_u32 v[226:227], null, s16, v187, 0
	v_mad_co_u64_u32 v[230:231], null, s17, v186, v[166:167]
	v_add_nc_u32_e32 v186, 0x3f6, v186
	v_sub_nc_u32_e32 v185, v185, v181
	v_dual_mov_b32 v181, v229 :: v_dual_mov_b32 v220, v225
	v_mov_b32_e32 v166, v227
	s_delay_alu instid0(VALU_DEP_4) | instskip(NEXT) | instid1(VALU_DEP_4)
	v_mad_co_u64_u32 v[231:232], null, s16, v186, 0
	v_mad_u32_u24 v185, 0x548, v188, v185
	v_mov_b32_e32 v223, v230
	s_delay_alu instid0(VALU_DEP_4) | instskip(SKIP_3) | instid1(VALU_DEP_4)
	v_mad_co_u64_u32 v[233:234], null, s17, v187, v[166:167]
	v_mad_co_u64_u32 v[234:235], null, s17, v191, v[181:182]
	v_mov_b32_e32 v166, v232
	v_mad_co_u64_u32 v[235:236], null, s16, v185, 0
	v_dual_mov_b32 v227, v233 :: v_dual_add_nc_u32 v188, 0x152, v185
	s_delay_alu instid0(VALU_DEP_3) | instskip(SKIP_1) | instid1(VALU_DEP_3)
	v_mad_co_u64_u32 v[237:238], null, s17, v186, v[166:167]
	v_add_nc_u32_e32 v186, 0x2a4, v185
	v_mad_co_u64_u32 v[238:239], null, s16, v188, 0
	v_mov_b32_e32 v166, v236
	v_lshlrev_b64_e32 v[213:214], 4, v[222:223]
	s_delay_alu instid0(VALU_DEP_4) | instskip(SKIP_1) | instid1(VALU_DEP_4)
	v_mad_co_u64_u32 v[240:241], null, s16, v186, 0
	v_add_nc_u32_e32 v192, 0x104, v255
	v_mad_co_u64_u32 v[242:243], null, s17, v185, v[166:167]
	v_mov_b32_e32 v166, v239
	v_mov_b32_e32 v232, v237
	s_delay_alu instid0(VALU_DEP_4) | instskip(SKIP_1) | instid1(VALU_DEP_4)
	v_mul_hi_u32 v193, 0x60f25deb, v192
	v_mov_b32_e32 v229, v234
	v_mad_co_u64_u32 v[249:250], null, s17, v188, v[166:167]
	v_mov_b32_e32 v236, v242
	s_delay_alu instid0(VALU_DEP_4) | instskip(NEXT) | instid1(VALU_DEP_2)
	v_lshrrev_b32_e32 v187, 7, v193
	v_lshlrev_b64_e32 v[221:222], 4, v[235:236]
	s_delay_alu instid0(VALU_DEP_4) | instskip(NEXT) | instid1(VALU_DEP_3)
	v_mov_b32_e32 v239, v249
	v_mul_u32_u24_e32 v181, 0x152, v187
	s_delay_alu instid0(VALU_DEP_1) | instskip(NEXT) | instid1(VALU_DEP_1)
	v_sub_nc_u32_e32 v181, v192, v181
	v_mad_u32_u24 v195, 0x548, v187, v181
	v_add_nc_u32_e32 v187, 0x3f6, v185
	v_mov_b32_e32 v181, v241
	s_delay_alu instid0(VALU_DEP_3) | instskip(NEXT) | instid1(VALU_DEP_3)
	v_add_nc_u32_e32 v185, 0x152, v195
	v_mad_co_u64_u32 v[243:244], null, s16, v187, 0
	v_add_nc_u32_e32 v191, 0x2a4, v195
	s_delay_alu instid0(VALU_DEP_4) | instskip(NEXT) | instid1(VALU_DEP_4)
	v_mad_co_u64_u32 v[250:251], null, s17, v186, v[181:182]
	v_mad_co_u64_u32 v[245:246], null, s16, v185, 0
	s_delay_alu instid0(VALU_DEP_3) | instskip(SKIP_1) | instid1(VALU_DEP_4)
	v_mad_co_u64_u32 v[247:248], null, s16, v191, 0
	v_mov_b32_e32 v166, v244
	v_dual_mov_b32 v212, v180 :: v_dual_mov_b32 v241, v250
	s_delay_alu instid0(VALU_DEP_4) | instskip(NEXT) | instid1(VALU_DEP_3)
	v_mov_b32_e32 v181, v246
	v_mad_co_u64_u32 v[251:252], null, s17, v187, v[166:167]
	v_mov_b32_e32 v166, v248
	s_delay_alu instid0(VALU_DEP_3)
	v_mad_co_u64_u32 v[252:253], null, s17, v185, v[181:182]
	global_load_b128 v[185:188], v[146:147], off offset:5408
	v_mad_co_u64_u32 v[146:147], null, s17, v191, v[166:167]
	global_load_b128 v[191:194], v189, s[4:5] offset:5376
	v_mad_co_u64_u32 v[253:254], null, s16, v195, 0
	v_add_nc_u32_e32 v166, 0x3f6, v195
	v_mov_b32_e32 v244, v251
	v_mov_b32_e32 v246, v252
	s_delay_alu instid0(VALU_DEP_4) | instskip(NEXT) | instid1(VALU_DEP_1)
	v_dual_mov_b32 v248, v146 :: v_dual_mov_b32 v147, v254
	v_mad_co_u64_u32 v[180:181], null, s17, v195, v[147:148]
	v_mad_co_u64_u32 v[195:196], null, s16, v166, 0
	v_lshlrev_b64_e32 v[181:182], 4, v[182:183]
	v_lshlrev_b64_e32 v[183:184], 4, v[211:212]
	s_delay_alu instid0(VALU_DEP_4) | instskip(NEXT) | instid1(VALU_DEP_4)
	v_mov_b32_e32 v254, v180
	v_dual_mov_b32 v147, v196 :: v_dual_add_nc_u32 v180, 0x138, v255
	s_delay_alu instid0(VALU_DEP_4) | instskip(NEXT) | instid1(VALU_DEP_3)
	v_add_co_u32 v181, vcc_lo, v136, v181
	v_lshlrev_b64_e32 v[235:236], 4, v[253:254]
	s_wait_alu 0xfffd
	v_add_co_ci_u32_e32 v182, vcc_lo, v137, v182, vcc_lo
	v_mad_co_u64_u32 v[196:197], null, s17, v166, v[147:148]
	v_lshlrev_b64_e32 v[197:198], 4, v[201:202]
	v_lshlrev_b64_e32 v[201:202], 4, v[203:204]
	;; [unrolled: 1-line block ×3, first 2 shown]
	v_cmp_gt_u32_e32 vcc_lo, 0x152, v180
	v_lshlrev_b64_e32 v[195:196], 4, v[195:196]
	s_delay_alu instid0(VALU_DEP_3) | instskip(SKIP_1) | instid1(VALU_DEP_4)
	v_add_co_u32 v146, s0, v136, v147
	s_wait_alu 0xf1ff
	v_add_co_ci_u32_e64 v147, s0, v137, v148, s0
	s_wait_loadcnt 0x11
	v_mul_f64_e32 v[203:204], v[34:35], v[110:111]
	s_wait_loadcnt_dscnt 0x1004
	v_mul_f64_e32 v[223:224], v[66:67], v[98:99]
	v_mul_f64_e32 v[98:99], v[30:31], v[98:99]
	s_wait_loadcnt 0xe
	v_mul_f64_e32 v[211:212], v[32:33], v[106:107]
	s_wait_dscnt 0x2
	v_mul_f64_e32 v[106:107], v[68:69], v[106:107]
	v_mul_f64_e32 v[110:111], v[70:71], v[110:111]
	s_wait_dscnt 0x0
	v_mul_f64_e32 v[148:149], v[48:49], v[74:75]
	v_mul_f64_e32 v[74:75], v[24:25], v[74:75]
	s_wait_loadcnt 0xd
	v_mul_f64_e32 v[253:254], v[50:51], v[94:95]
	s_wait_loadcnt 0xc
	v_mul_f64_e32 v[233:234], v[64:65], v[102:103]
	v_mul_f64_e32 v[102:103], v[28:29], v[102:103]
	;; [unrolled: 1-line block ×3, first 2 shown]
	v_fma_f64 v[70:71], v[70:71], v[108:109], -v[203:204]
	v_fma_f64 v[30:31], v[30:31], v[96:97], v[223:224]
	v_fma_f64 v[66:67], v[66:67], v[96:97], -v[98:99]
	v_fma_f64 v[68:69], v[68:69], v[104:105], -v[211:212]
	v_fma_f64 v[32:33], v[32:33], v[104:105], v[106:107]
	s_wait_loadcnt 0x8
	v_mul_f64_e32 v[104:105], v[0:1], v[90:91]
	v_mul_f64_e32 v[96:97], v[52:53], v[86:87]
	;; [unrolled: 1-line block ×4, first 2 shown]
	v_fma_f64 v[34:35], v[34:35], v[108:109], v[110:111]
	v_mul_f64_e32 v[108:109], v[2:3], v[78:79]
	v_mul_f64_e32 v[110:111], v[42:43], v[82:83]
	;; [unrolled: 1-line block ×4, first 2 shown]
	v_fma_f64 v[24:25], v[24:25], v[72:73], v[148:149]
	v_fma_f64 v[48:49], v[48:49], v[72:73], -v[74:75]
	v_lshlrev_b64_e32 v[223:224], 4, v[245:246]
	s_wait_loadcnt 0x7
	v_mul_f64_e32 v[203:204], v[54:55], v[114:115]
	s_wait_loadcnt 0x6
	v_mul_f64_e32 v[106:107], v[40:41], v[118:119]
	v_fma_f64 v[64:65], v[64:65], v[100:101], -v[102:103]
	s_wait_loadcnt 0x4
	v_mul_f64_e32 v[211:212], v[38:39], v[126:127]
	s_wait_loadcnt 0x3
	v_mul_f64_e32 v[251:252], v[44:45], v[130:131]
	;; [unrolled: 2-line block ×3, first 2 shown]
	v_mul_f64_e32 v[134:135], v[56:57], v[134:135]
	v_mul_f64_e32 v[130:131], v[12:13], v[130:131]
	;; [unrolled: 1-line block ×4, first 2 shown]
	v_fma_f64 v[28:29], v[28:29], v[100:101], v[233:234]
	v_mul_f64_e32 v[118:119], v[10:11], v[122:123]
	v_mul_f64_e32 v[122:123], v[58:59], v[122:123]
	v_fma_f64 v[26:27], v[26:27], v[92:93], v[253:254]
	v_fma_f64 v[50:51], v[50:51], v[92:93], -v[94:95]
	v_mul_f64_e32 v[92:93], v[6:7], v[114:115]
	v_add_co_u32 v114, s0, v136, v197
	s_wait_alu 0xf1ff
	v_add_co_ci_u32_e64 v115, s0, v137, v198, s0
	v_lshlrev_b64_e32 v[94:95], 4, v[205:206]
	v_lshlrev_b64_e32 v[197:198], 4, v[219:220]
	v_fma_f64 v[60:61], v[60:61], v[88:89], -v[104:105]
	v_fma_f64 v[4:5], v[4:5], v[84:85], v[96:97]
	v_fma_f64 v[52:53], v[52:53], v[84:85], -v[86:87]
	v_fma_f64 v[0:1], v[0:1], v[88:89], v[90:91]
	v_add_f64_e64 v[104:105], v[156:157], -v[34:35]
	v_fma_f64 v[62:63], v[62:63], v[76:77], -v[108:109]
	v_fma_f64 v[22:23], v[22:23], v[80:81], v[110:111]
	v_fma_f64 v[2:3], v[2:3], v[76:77], v[78:79]
	v_fma_f64 v[42:43], v[42:43], v[80:81], -v[82:83]
	v_add_f64_e64 v[80:81], v[152:153], -v[68:69]
	v_add_f64_e64 v[88:89], v[178:179], -v[70:71]
	v_add_f64_e64 v[90:91], v[199:200], -v[32:33]
	v_add_co_u32 v96, s0, v136, v201
	s_wait_alu 0xf1ff
	v_add_co_ci_u32_e64 v97, s0, v137, v202, s0
	v_fma_f64 v[6:7], v[6:7], v[112:113], v[203:204]
	v_fma_f64 v[20:21], v[20:21], v[116:117], v[106:107]
	v_add_f64_e64 v[48:49], v[64:65], -v[48:49]
	v_fma_f64 v[18:19], v[18:19], v[124:125], v[211:212]
	v_fma_f64 v[12:13], v[12:13], v[128:129], v[251:252]
	v_fma_f64 v[56:57], v[56:57], v[132:133], -v[249:250]
	v_fma_f64 v[8:9], v[8:9], v[132:133], v[134:135]
	v_fma_f64 v[44:45], v[44:45], v[128:129], -v[130:131]
	v_fma_f64 v[38:39], v[38:39], v[124:125], -v[102:103]
	;; [unrolled: 1-line block ×3, first 2 shown]
	v_add_co_u32 v98, s0, v136, v183
	v_fma_f64 v[58:59], v[58:59], v[120:121], -v[118:119]
	v_fma_f64 v[10:11], v[10:11], v[120:121], v[122:123]
	s_wait_alu 0xf1ff
	v_add_co_ci_u32_e64 v99, s0, v137, v184, s0
	v_fma_f64 v[54:55], v[54:55], v[112:113], -v[92:93]
	v_lshlrev_b64_e32 v[128:129], 4, v[207:208]
	v_lshlrev_b64_e32 v[130:131], 4, v[209:210]
	;; [unrolled: 1-line block ×5, first 2 shown]
	v_add_f64_e64 v[70:71], v[170:171], -v[60:61]
	v_add_f64_e64 v[60:61], v[28:29], -v[24:25]
	v_lshlrev_b64_e32 v[209:210], 4, v[231:232]
	v_add_f64_e64 v[74:75], v[142:143], -v[0:1]
	v_fma_f64 v[116:117], v[156:157], 2.0, -v[104:105]
	v_add_f64_e64 v[76:77], v[172:173], -v[62:63]
	v_lshlrev_b64_e32 v[215:216], 4, v[238:239]
	v_add_f64_e64 v[82:83], v[150:151], -v[2:3]
	v_lshlrev_b64_e32 v[219:220], 4, v[243:244]
	v_fma_f64 v[124:125], v[152:153], 2.0, -v[80:81]
	v_fma_f64 v[92:93], v[178:179], 2.0, -v[88:89]
	v_lshlrev_b64_e32 v[225:226], 4, v[247:248]
	v_add_f64_e64 v[56:57], v[176:177], -v[56:57]
	v_add_f64_e64 v[72:73], v[154:155], -v[8:9]
	;; [unrolled: 1-line block ×7, first 2 shown]
	v_fma_f64 v[118:119], v[142:143], 2.0, -v[74:75]
	v_fma_f64 v[120:121], v[172:173], 2.0, -v[76:77]
	;; [unrolled: 1-line block ×5, first 2 shown]
	v_add_f64_e64 v[2:3], v[88:89], -v[8:9]
	v_fma_f64 v[66:67], v[66:67], 2.0, -v[26:27]
	v_fma_f64 v[20:21], v[20:21], 2.0, -v[50:51]
	v_add_f64_e32 v[0:1], v[104:105], v[26:27]
	v_fma_f64 v[84:85], v[174:175], 2.0, -v[58:59]
	v_fma_f64 v[86:87], v[144:145], 2.0, -v[68:69]
	s_wait_loadcnt 0x1
	v_mul_f64_e32 v[100:101], v[46:47], v[187:188]
	v_mul_f64_e32 v[132:133], v[14:15], v[187:188]
	v_lshlrev_b64_e32 v[187:188], 4, v[217:218]
	s_wait_loadcnt 0x0
	v_mul_f64_e32 v[126:127], v[16:17], v[191:192]
	v_mul_f64_e32 v[16:17], v[16:17], v[193:194]
	v_lshlrev_b64_e32 v[217:218], 4, v[240:241]
	v_fma_f64 v[14:15], v[14:15], v[185:186], v[100:101]
	v_fma_f64 v[46:47], v[46:47], v[185:186], -v[132:133]
	v_add_co_u32 v100, s0, v136, v213
	v_fma_f64 v[16:17], v[36:37], v[191:192], -v[16:17]
	v_fma_f64 v[36:37], v[36:37], v[193:194], v[126:127]
	s_wait_alu 0xf1ff
	v_add_co_ci_u32_e64 v101, s0, v137, v214, s0
	v_add_co_u32 v102, s0, v136, v221
	s_wait_alu 0xf1ff
	v_add_co_ci_u32_e64 v103, s0, v137, v222, s0
	v_add_co_u32 v106, s0, v136, v235
	s_wait_alu 0xf1ff
	v_add_co_ci_u32_e64 v107, s0, v137, v236, s0
	v_add_co_u32 v108, s0, v136, v94
	s_wait_alu 0xf1ff
	v_add_co_ci_u32_e64 v109, s0, v137, v95, s0
	v_fma_f64 v[94:95], v[170:171], 2.0, -v[70:71]
	v_fma_f64 v[126:127], v[199:200], 2.0, -v[90:91]
	v_add_co_u32 v110, s0, v136, v128
	s_wait_alu 0xf1ff
	v_add_co_ci_u32_e64 v111, s0, v137, v129, s0
	v_fma_f64 v[128:129], v[30:31], 2.0, -v[8:9]
	v_add_co_u32 v112, s0, v136, v130
	s_wait_alu 0xf1ff
	v_add_co_ci_u32_e64 v113, s0, v137, v131, s0
	v_add_co_u32 v130, s0, v136, v134
	s_wait_alu 0xf1ff
	v_add_co_ci_u32_e64 v131, s0, v137, v135, s0
	;; [unrolled: 3-line block ×3, first 2 shown]
	v_add_f64_e64 v[14:15], v[18:19], -v[14:15]
	v_add_co_u32 v134, s0, v136, v197
	v_add_f64_e64 v[34:35], v[16:17], -v[44:45]
	v_add_f64_e64 v[12:13], v[36:37], -v[12:13]
	;; [unrolled: 1-line block ×6, first 2 shown]
	s_wait_alu 0xf1ff
	v_add_co_ci_u32_e64 v135, s0, v137, v198, s0
	v_add_co_u32 v142, s0, v136, v205
	s_wait_alu 0xf1ff
	v_add_co_ci_u32_e64 v143, s0, v137, v206, s0
	v_fma_f64 v[32:33], v[18:19], 2.0, -v[14:15]
	v_add_f64_e64 v[14:15], v[58:59], -v[14:15]
	v_fma_f64 v[4:5], v[16:17], 2.0, -v[34:35]
	v_fma_f64 v[16:17], v[36:37], 2.0, -v[12:13]
	;; [unrolled: 1-line block ×8, first 2 shown]
	v_add_f64_e64 v[6:7], v[56:57], -v[12:13]
	v_add_f64_e32 v[12:13], v[68:69], v[44:45]
	v_add_f64_e64 v[22:23], v[70:71], -v[50:51]
	v_add_f64_e64 v[30:31], v[76:77], -v[54:55]
	v_add_f64_e32 v[28:29], v[82:83], v[52:53]
	v_add_f64_e64 v[44:45], v[116:117], -v[128:129]
	v_add_co_u32 v128, s0, v136, v207
	s_wait_alu 0xf1ff
	v_add_co_ci_u32_e64 v129, s0, v137, v208, s0
	v_add_co_u32 v144, s0, v136, v209
	s_wait_alu 0xf1ff
	v_add_co_ci_u32_e64 v145, s0, v137, v210, s0
	v_add_co_u32 v148, s0, v136, v215
	s_wait_alu 0xf1ff
	v_add_co_ci_u32_e64 v149, s0, v137, v216, s0
	v_add_co_u32 v150, s0, v136, v217
	s_wait_alu 0xf1ff
	v_add_co_ci_u32_e64 v151, s0, v137, v218, s0
	v_fma_f64 v[58:59], v[58:59], 2.0, -v[14:15]
	v_add_f64_e64 v[10:11], v[62:63], -v[4:5]
	v_add_f64_e64 v[8:9], v[78:79], -v[16:17]
	v_add_f64_e32 v[4:5], v[72:73], v[34:35]
	v_add_f64_e64 v[18:19], v[84:85], -v[24:25]
	v_add_f64_e64 v[16:17], v[86:87], -v[32:33]
	;; [unrolled: 1-line block ×4, first 2 shown]
	v_add_f64_e32 v[20:21], v[74:75], v[46:47]
	v_add_f64_e64 v[34:35], v[120:121], -v[38:39]
	v_add_f64_e64 v[32:33], v[122:123], -v[40:41]
	;; [unrolled: 1-line block ×5, first 2 shown]
	v_add_f64_e32 v[36:37], v[90:91], v[48:49]
	v_add_f64_e64 v[46:47], v[92:93], -v[66:67]
	v_fma_f64 v[50:51], v[56:57], 2.0, -v[6:7]
	v_fma_f64 v[56:57], v[68:69], 2.0, -v[12:13]
	;; [unrolled: 1-line block ×23, first 2 shown]
	v_add_co_u32 v104, s0, v136, v219
	s_wait_alu 0xf1ff
	v_add_co_ci_u32_e64 v105, s0, v137, v220, s0
	v_add_co_u32 v116, s0, v136, v223
	s_wait_alu 0xf1ff
	v_add_co_ci_u32_e64 v117, s0, v137, v224, s0
	;; [unrolled: 3-line block ×4, first 2 shown]
	s_clause 0x17
	global_store_b128 v[181:182], v[52:55], off
	global_store_b128 v[168:169], v[48:51], off
	;; [unrolled: 1-line block ×24, first 2 shown]
	s_and_b32 exec_lo, exec_lo, vcc_lo
	s_cbranch_execz .LBB0_20
; %bb.19:
	scratch_load_b32 v0, off, off offset:100 th:TH_LOAD_LU ; 4-byte Folded Reload
	v_add_nc_u32_e32 v30, 0x28a, v255
	s_delay_alu instid0(VALU_DEP_1) | instskip(SKIP_2) | instid1(VALU_DEP_1)
	v_mad_co_u64_u32 v[22:23], null, s16, v30, 0
	s_wait_loadcnt 0x0
	v_mul_i32_i24_e32 v166, 3, v0
	v_lshlrev_b64_e32 v[0:1], 4, v[166:167]
	s_delay_alu instid0(VALU_DEP_1) | instskip(SKIP_1) | instid1(VALU_DEP_2)
	v_add_co_u32 v8, vcc_lo, s4, v0
	s_wait_alu 0xfffd
	v_add_co_ci_u32_e32 v9, vcc_lo, s5, v1, vcc_lo
	s_clause 0x2
	global_load_b128 v[0:3], v[8:9], off offset:5376
	global_load_b128 v[4:7], v[8:9], off offset:5392
	global_load_b128 v[8:11], v[8:9], off offset:5408
	s_clause 0x1
	scratch_load_b64 v[18:19], off, off offset:4 th:TH_LOAD_LU
	scratch_load_b64 v[20:21], off, off offset:24 th:TH_LOAD_LU
	s_wait_loadcnt 0x4
	v_mul_f64_e32 v[12:13], v[160:161], v[2:3]
	v_mul_f64_e32 v[2:3], v[140:141], v[2:3]
	s_wait_loadcnt 0x3
	v_mul_f64_e32 v[14:15], v[162:163], v[6:7]
	s_wait_loadcnt 0x1
	v_mul_f64_e32 v[6:7], v[18:19], v[6:7]
	v_mul_f64_e32 v[16:17], v[164:165], v[10:11]
	s_wait_loadcnt 0x0
	v_mul_f64_e32 v[10:11], v[20:21], v[10:11]
	v_fma_f64 v[12:13], v[140:141], v[0:1], v[12:13]
	v_fma_f64 v[0:1], v[160:161], v[0:1], -v[2:3]
	v_fma_f64 v[2:3], v[18:19], v[4:5], v[14:15]
	v_fma_f64 v[4:5], v[162:163], v[4:5], -v[6:7]
	;; [unrolled: 2-line block ×3, first 2 shown]
	v_mad_co_u64_u32 v[20:21], null, s16, v180, 0
	v_add_nc_u32_e32 v31, 0x3dc, v255
	v_add_f64_e64 v[10:11], v[138:139], -v[2:3]
	v_add_f64_e64 v[16:17], v[158:159], -v[4:5]
	;; [unrolled: 1-line block ×4, first 2 shown]
	s_delay_alu instid0(VALU_DEP_4) | instskip(NEXT) | instid1(VALU_DEP_4)
	v_fma_f64 v[14:15], v[138:139], 2.0, -v[10:11]
	v_fma_f64 v[18:19], v[158:159], 2.0, -v[16:17]
	s_delay_alu instid0(VALU_DEP_4) | instskip(NEXT) | instid1(VALU_DEP_4)
	v_fma_f64 v[6:7], v[12:13], 2.0, -v[2:3]
	v_fma_f64 v[8:9], v[0:1], 2.0, -v[4:5]
	v_add_f64_e32 v[0:1], v[10:11], v[4:5]
	v_add_f64_e64 v[2:3], v[16:17], -v[2:3]
	s_delay_alu instid0(VALU_DEP_4) | instskip(NEXT) | instid1(VALU_DEP_4)
	v_add_f64_e64 v[4:5], v[14:15], -v[6:7]
	v_add_f64_e64 v[6:7], v[18:19], -v[8:9]
	v_mov_b32_e32 v8, v21
	v_mad_co_u64_u32 v[24:25], null, s16, v31, 0
	v_dual_mov_b32 v21, v23 :: v_dual_add_nc_u32 v32, 0x52e, v255
	s_delay_alu instid0(VALU_DEP_3)
	v_mad_co_u64_u32 v[28:29], null, s17, v180, v[8:9]
	v_fma_f64 v[8:9], v[10:11], 2.0, -v[0:1]
	v_fma_f64 v[10:11], v[16:17], 2.0, -v[2:3]
	v_mov_b32_e32 v23, v25
	v_mad_co_u64_u32 v[26:27], null, s16, v32, 0
	v_mad_co_u64_u32 v[16:17], null, s17, v30, v[21:22]
	v_mov_b32_e32 v21, v28
	s_delay_alu instid0(VALU_DEP_3) | instskip(SKIP_3) | instid1(VALU_DEP_4)
	v_mov_b32_e32 v25, v27
	v_fma_f64 v[12:13], v[14:15], 2.0, -v[4:5]
	v_fma_f64 v[14:15], v[18:19], 2.0, -v[6:7]
	v_mad_co_u64_u32 v[17:18], null, s17, v31, v[23:24]
	v_mad_co_u64_u32 v[18:19], null, s17, v32, v[25:26]
	v_mov_b32_e32 v23, v16
	s_delay_alu instid0(VALU_DEP_3) | instskip(SKIP_1) | instid1(VALU_DEP_4)
	v_mov_b32_e32 v25, v17
	v_lshlrev_b64_e32 v[16:17], 4, v[20:21]
	v_mov_b32_e32 v27, v18
	s_delay_alu instid0(VALU_DEP_4) | instskip(NEXT) | instid1(VALU_DEP_4)
	v_lshlrev_b64_e32 v[18:19], 4, v[22:23]
	v_lshlrev_b64_e32 v[20:21], 4, v[24:25]
	s_delay_alu instid0(VALU_DEP_4)
	v_add_co_u32 v16, vcc_lo, v136, v16
	s_wait_alu 0xfffd
	v_add_co_ci_u32_e32 v17, vcc_lo, v137, v17, vcc_lo
	v_lshlrev_b64_e32 v[22:23], 4, v[26:27]
	v_add_co_u32 v18, vcc_lo, v136, v18
	s_wait_alu 0xfffd
	v_add_co_ci_u32_e32 v19, vcc_lo, v137, v19, vcc_lo
	v_add_co_u32 v20, vcc_lo, v136, v20
	s_wait_alu 0xfffd
	v_add_co_ci_u32_e32 v21, vcc_lo, v137, v21, vcc_lo
	;; [unrolled: 3-line block ×3, first 2 shown]
	s_clause 0x3
	global_store_b128 v[16:17], v[12:15], off
	global_store_b128 v[18:19], v[8:11], off
	;; [unrolled: 1-line block ×4, first 2 shown]
.LBB0_20:
	s_endpgm
	.section	.rodata,"a",@progbits
	.p2align	6, 0x0
	.amdhsa_kernel fft_rtc_back_len1352_factors_2_13_13_4_wgs_52_tpt_52_halfLds_dp_op_CI_CI_sbrr_dirReg
		.amdhsa_group_segment_fixed_size 0
		.amdhsa_private_segment_fixed_size 388
		.amdhsa_kernarg_size 104
		.amdhsa_user_sgpr_count 2
		.amdhsa_user_sgpr_dispatch_ptr 0
		.amdhsa_user_sgpr_queue_ptr 0
		.amdhsa_user_sgpr_kernarg_segment_ptr 1
		.amdhsa_user_sgpr_dispatch_id 0
		.amdhsa_user_sgpr_private_segment_size 0
		.amdhsa_wavefront_size32 1
		.amdhsa_uses_dynamic_stack 0
		.amdhsa_enable_private_segment 1
		.amdhsa_system_sgpr_workgroup_id_x 1
		.amdhsa_system_sgpr_workgroup_id_y 0
		.amdhsa_system_sgpr_workgroup_id_z 0
		.amdhsa_system_sgpr_workgroup_info 0
		.amdhsa_system_vgpr_workitem_id 0
		.amdhsa_next_free_vgpr 256
		.amdhsa_next_free_sgpr 48
		.amdhsa_reserve_vcc 1
		.amdhsa_float_round_mode_32 0
		.amdhsa_float_round_mode_16_64 0
		.amdhsa_float_denorm_mode_32 3
		.amdhsa_float_denorm_mode_16_64 3
		.amdhsa_fp16_overflow 0
		.amdhsa_workgroup_processor_mode 1
		.amdhsa_memory_ordered 1
		.amdhsa_forward_progress 0
		.amdhsa_round_robin_scheduling 0
		.amdhsa_exception_fp_ieee_invalid_op 0
		.amdhsa_exception_fp_denorm_src 0
		.amdhsa_exception_fp_ieee_div_zero 0
		.amdhsa_exception_fp_ieee_overflow 0
		.amdhsa_exception_fp_ieee_underflow 0
		.amdhsa_exception_fp_ieee_inexact 0
		.amdhsa_exception_int_div_zero 0
	.end_amdhsa_kernel
	.text
.Lfunc_end0:
	.size	fft_rtc_back_len1352_factors_2_13_13_4_wgs_52_tpt_52_halfLds_dp_op_CI_CI_sbrr_dirReg, .Lfunc_end0-fft_rtc_back_len1352_factors_2_13_13_4_wgs_52_tpt_52_halfLds_dp_op_CI_CI_sbrr_dirReg
                                        ; -- End function
	.section	.AMDGPU.csdata,"",@progbits
; Kernel info:
; codeLenInByte = 24048
; NumSgprs: 50
; NumVgprs: 256
; ScratchSize: 388
; MemoryBound: 1
; FloatMode: 240
; IeeeMode: 1
; LDSByteSize: 0 bytes/workgroup (compile time only)
; SGPRBlocks: 6
; VGPRBlocks: 31
; NumSGPRsForWavesPerEU: 50
; NumVGPRsForWavesPerEU: 256
; Occupancy: 5
; WaveLimiterHint : 1
; COMPUTE_PGM_RSRC2:SCRATCH_EN: 1
; COMPUTE_PGM_RSRC2:USER_SGPR: 2
; COMPUTE_PGM_RSRC2:TRAP_HANDLER: 0
; COMPUTE_PGM_RSRC2:TGID_X_EN: 1
; COMPUTE_PGM_RSRC2:TGID_Y_EN: 0
; COMPUTE_PGM_RSRC2:TGID_Z_EN: 0
; COMPUTE_PGM_RSRC2:TIDIG_COMP_CNT: 0
	.text
	.p2alignl 7, 3214868480
	.fill 96, 4, 3214868480
	.type	__hip_cuid_c2fe8a2e3e53f784,@object ; @__hip_cuid_c2fe8a2e3e53f784
	.section	.bss,"aw",@nobits
	.globl	__hip_cuid_c2fe8a2e3e53f784
__hip_cuid_c2fe8a2e3e53f784:
	.byte	0                               ; 0x0
	.size	__hip_cuid_c2fe8a2e3e53f784, 1

	.ident	"AMD clang version 19.0.0git (https://github.com/RadeonOpenCompute/llvm-project roc-6.4.0 25133 c7fe45cf4b819c5991fe208aaa96edf142730f1d)"
	.section	".note.GNU-stack","",@progbits
	.addrsig
	.addrsig_sym __hip_cuid_c2fe8a2e3e53f784
	.amdgpu_metadata
---
amdhsa.kernels:
  - .args:
      - .actual_access:  read_only
        .address_space:  global
        .offset:         0
        .size:           8
        .value_kind:     global_buffer
      - .offset:         8
        .size:           8
        .value_kind:     by_value
      - .actual_access:  read_only
        .address_space:  global
        .offset:         16
        .size:           8
        .value_kind:     global_buffer
      - .actual_access:  read_only
        .address_space:  global
        .offset:         24
        .size:           8
        .value_kind:     global_buffer
      - .actual_access:  read_only
        .address_space:  global
        .offset:         32
        .size:           8
        .value_kind:     global_buffer
      - .offset:         40
        .size:           8
        .value_kind:     by_value
      - .actual_access:  read_only
        .address_space:  global
        .offset:         48
        .size:           8
        .value_kind:     global_buffer
      - .actual_access:  read_only
        .address_space:  global
        .offset:         56
        .size:           8
        .value_kind:     global_buffer
      - .offset:         64
        .size:           4
        .value_kind:     by_value
      - .actual_access:  read_only
        .address_space:  global
        .offset:         72
        .size:           8
        .value_kind:     global_buffer
      - .actual_access:  read_only
        .address_space:  global
        .offset:         80
        .size:           8
        .value_kind:     global_buffer
      - .actual_access:  read_only
        .address_space:  global
        .offset:         88
        .size:           8
        .value_kind:     global_buffer
      - .actual_access:  write_only
        .address_space:  global
        .offset:         96
        .size:           8
        .value_kind:     global_buffer
    .group_segment_fixed_size: 0
    .kernarg_segment_align: 8
    .kernarg_segment_size: 104
    .language:       OpenCL C
    .language_version:
      - 2
      - 0
    .max_flat_workgroup_size: 52
    .name:           fft_rtc_back_len1352_factors_2_13_13_4_wgs_52_tpt_52_halfLds_dp_op_CI_CI_sbrr_dirReg
    .private_segment_fixed_size: 388
    .sgpr_count:     50
    .sgpr_spill_count: 0
    .symbol:         fft_rtc_back_len1352_factors_2_13_13_4_wgs_52_tpt_52_halfLds_dp_op_CI_CI_sbrr_dirReg.kd
    .uniform_work_group_size: 1
    .uses_dynamic_stack: false
    .vgpr_count:     256
    .vgpr_spill_count: 101
    .wavefront_size: 32
    .workgroup_processor_mode: 1
amdhsa.target:   amdgcn-amd-amdhsa--gfx1201
amdhsa.version:
  - 1
  - 2
...

	.end_amdgpu_metadata
